;; amdgpu-corpus repo=ROCm/aiter kind=harvested arch=n/a opt=n/a

/root/src/amdgpu-assembly/repos/ROCm__aiter/hsa/gfx950/bf16gemm/bf16gemm_fp32bf16_tn_48x64_bshuffle_splitk.co:	file format elf64-amdgpu

Disassembly of section .text:

0000000000002900 <_ZN5aiter42bf16gemm_fp32bf16_tn_48x64_bshuffle_splitkE>:
	s_mov_b32 s49, s4                                          // 000000002900: BEB10004
	s_and_b32 s1, s1, 0xffff                                   // 000000002904: 8601FF01 0000FFFF
	s_load_dword s25, s[0:1], 0xe0                             // 00000000290C: C0020640 000000E0
	s_load_dword s26, s[0:1], 0xf0                             // 000000002914: C0020680 000000F0
	s_load_dword s27, s[0:1], 0x100                            // 00000000291C: C00206C0 00000100
	s_load_dword s28, s[0:1], 0xa0                             // 000000002924: C0020700 000000A0
	s_load_dword s29, s[0:1], 0xc0                             // 00000000292C: C0020740 000000C0
	s_load_dword s30, s[0:1], 0x80                             // 000000002934: C0020780 00000080
	s_load_dword s20, s[0:1], 0x40                             // 00000000293C: C0020500 00000040
	s_load_dword s21, s[0:1], 0x50                             // 000000002944: C0020540 00000050
	s_load_dwordx2 s[4:5], s[0:1], 0x20                        // 00000000294C: C0060100 00000020
	s_load_dwordx2 s[8:9], s[0:1], 0x30                        // 000000002954: C0060200 00000030
	s_load_dwordx2 s[12:13], s[0:1], 0x10                      // 00000000295C: C0060300 00000010
	s_load_dwordx2 s[16:17], s[0:1], 0x0                       // 000000002964: C0060400 00000000
	s_load_dword s48, s[0:1], 0x110                            // 00000000296C: C0020C00 00000110
	s_load_dword s50, s[0:1], 0x120                            // 000000002974: C0020C80 00000120
	s_load_dwordx2 s[36:37], s[0:1], 0x130                     // 00000000297C: C0060900 00000130
	s_load_dword s57, s[0:1], 0x140                            // 000000002984: C0020E40 00000140
	v_lshrrev_b32_e32 v1, 10, v0                               // 00000000298C: 2002008A
	v_lshrrev_b32_e32 v2, 10, v1                               // 000000002990: 2004028A
	v_and_b32_e32 v2, 0x3ff, v2                                // 000000002994: 260404FF 000003FF
	v_and_b32_e32 v1, 0x3ff, v1                                // 00000000299C: 260202FF 000003FF
	v_and_b32_e32 v0, 0x3ff, v0                                // 0000000029A4: 260000FF 000003FF
	v_lshrrev_b32_e32 v3, 6, v0                                // 0000000029AC: 20060086
	v_and_b32_e32 v0, 63, v0                                   // 0000000029B0: 260000BF
	s_mov_b32 s22, s2                                          // 0000000029B4: BE960002
	s_mov_b32 s23, s3                                          // 0000000029B8: BE970003
	v_readfirstlane_b32 s24, v3                                // 0000000029BC: 7E300503
	s_waitcnt lgkmcnt(0)                                       // 0000000029C0: BF8CC07F
	s_mov_b32 s18, -16                                         // 0000000029C4: BE9200D0
	s_mov_b32 s14, -16                                         // 0000000029C8: BE8E00D0
	s_mov_b32 s10, -16                                         // 0000000029CC: BE8A00D0
	s_mov_b32 s6, -16                                          // 0000000029D0: BE8600D0
	s_mov_b32 s38, -16                                         // 0000000029D4: BEA600D0
	s_mov_b32 s19, 0x20000                                     // 0000000029D8: BE9300FF 00020000
	s_mov_b32 s15, 0x20000                                     // 0000000029E0: BE8F00FF 00020000
	s_mov_b32 s11, 0x20000                                     // 0000000029E8: BE8B00FF 00020000
	s_mov_b32 s7, 0x20000                                      // 0000000029F0: BE8700FF 00020000
	s_mov_b32 s39, 0x20000                                     // 0000000029F8: BEA700FF 00020000
	s_and_b32 s17, s17, 0xffff                                 // 000000002A00: 8611FF11 0000FFFF
	s_and_b32 s13, s13, 0xffff                                 // 000000002A08: 860DFF0D 0000FFFF
	s_and_b32 s9, s9, 0xffff                                   // 000000002A10: 8609FF09 0000FFFF
	s_and_b32 s5, s5, 0xffff                                   // 000000002A18: 8605FF05 0000FFFF
	s_and_b32 s37, s37, 0xffff                                 // 000000002A20: 8625FF25 0000FFFF
	s_or_b32 s17, s17, 0x40000                                 // 000000002A28: 8711FF11 00040000
	s_or_b32 s13, s13, 0x40000                                 // 000000002A30: 870DFF0D 00040000
	s_or_b32 s9, s9, 0x40000                                   // 000000002A38: 8709FF09 00040000
	s_or_b32 s5, s5, 0x40000                                   // 000000002A40: 8705FF05 00040000
	s_or_b32 s37, s37, 0x40000                                 // 000000002A48: 8725FF25 00040000
	s_mov_b32 s35, 0x7060302                                   // 000000002A50: BEA300FF 07060302
	v_mov_b32_e32 v9, 0xffff0000                               // 000000002A58: 7E1202FF FFFF0000
	v_mov_b32_e32 v10, 0x7fff0000                              // 000000002A60: 7E1402FF 7FFF0000
	v_mov_b32_e32 v11, 0x7fff                                  // 000000002A68: 7E1602FF 00007FFF
	s_mul_i32 s31, s28, s25                                    // 000000002A70: 921F191C
	s_mov_b32 s6, s31                                          // 000000002A74: BE86001F
	s_mov_b32 s40, 0x80                                        // 000000002A78: BEA800FF 00000080
	v_lshrrev_b32_e32 v4, 5, v0                                // 000000002A80: 20080085
	v_lshlrev_b32_e32 v4, 2, v4                                // 000000002A84: 24080882
	v_mul_lo_u32 v16, v4, s28                                  // 000000002A88: D2850010 00003904
	v_and_b32_e32 v4, 31, v0                                   // 000000002A90: 2608009F
	v_lshlrev_b32_e32 v4, 2, v4                                // 000000002A94: 24080882
	v_add_u32_e32 v16, v16, v4                                 // 000000002A98: 68200910
	s_mul_i32 s31, 8, s28                                      // 000000002A9C: 921F1C88
	v_add_u32_e64 v17, v16, s31                                // 000000002AA0: D1340011 00003F10
	v_add_u32_e64 v18, v17, s31                                // 000000002AA8: D1340012 00003F11
	v_add_u32_e64 v19, v18, s31                                // 000000002AB0: D1340013 00003F12
	v_add_u32_e64 v20, v19, s31                                // 000000002AB8: D1340014 00003F13
	v_add_u32_e64 v21, v20, s31                                // 000000002AC0: D1340015 00003F14
	s_mul_i32 s31, s23, 48                                     // 000000002AC8: 921FB017
	s_add_u32 s31, s31, s24                                    // 000000002ACC: 801F181F
	s_mul_i32 s32, s31, s28                                    // 000000002AD0: 92201C1F
	v_add_u32_e64 v16, v16, s32                                // 000000002AD4: D1340010 00004110
	v_add_u32_e64 v17, v17, s32                                // 000000002ADC: D1340011 00004111
	v_add_u32_e64 v18, v18, s32                                // 000000002AE4: D1340012 00004112
	v_add_u32_e64 v19, v19, s32                                // 000000002AEC: D1340013 00004113
	v_add_u32_e64 v20, v20, s32                                // 000000002AF4: D1340014 00004114
	v_add_u32_e64 v21, v21, s32                                // 000000002AFC: D1340015 00004115
	v_lshrrev_b32_e32 v4, 4, v0                                // 000000002B04: 20080084
	v_lshlrev_b32_e32 v5, 2, v4                                // 000000002B08: 240A0882
	v_and_b32_e32 v4, 15, v0                                   // 000000002B0C: 2608008F
	v_lshrrev_b32_e32 v6, 2, v4                                // 000000002B10: 200C0882
	v_lshlrev_b32_e32 v6, 5, v6                                // 000000002B14: 240C0C85
	v_add_u32_e32 v5, v6, v5                                   // 000000002B18: 680A0B06
	v_and_b32_e32 v4, 3, v0                                    // 000000002B1C: 26080083
	v_mul_u32_u24_e32 v6, 0x188, v4                            // 000000002B20: 100C08FF 00000188
	v_add_u32_e32 v5, v6, v5                                   // 000000002B28: 680A0B06
	v_lshlrev_b32_e32 v22, 2, v5                               // 000000002B2C: 242C0A82
	s_mul_i32 s31, s24, 0x620                                  // 000000002B30: 921FFF18 00000620
	s_add_u32 s42, 0, s31                                      // 000000002B38: 802A1F80
	s_add_u32 s43, 0x1880, s42                                 // 000000002B3C: 802B2AFF 00001880
	s_add_u32 s44, 0x1880, s43                                 // 000000002B44: 802C2BFF 00001880
	s_mul_i32 s31, s29, s26                                    // 000000002B4C: 921F1A1D
	s_mov_b32 s10, s31                                         // 000000002B50: BE8A001F
	s_mov_b32 s41, 0x800                                       // 000000002B54: BEA900FF 00000800
	v_lshlrev_b32_e32 v23, 4, v0                               // 000000002B5C: 242E0084
	s_mov_b32 s31, 0x400                                       // 000000002B60: BE9F00FF 00000400
	v_add_u32_e64 v24, v23, s31                                // 000000002B68: D1340018 00003F17
	s_mul_i32 s31, s22, 64                                     // 000000002B70: 921FC016
	s_mul_i32 s32, 16, s24                                     // 000000002B74: 92201890
	s_add_u32 s31, s31, s32                                    // 000000002B78: 801F201F
	s_mul_i32 s32, s31, s29                                    // 000000002B7C: 92201D1F
	v_add_u32_e64 v23, v23, s32                                // 000000002B80: D1340017 00004117
	v_add_u32_e64 v24, v24, s32                                // 000000002B88: D1340018 00004118
	s_cmp_le_u32 s48, 1                                        // 000000002B90: BF0B8130
	s_cbranch_scc1 label_00E0                                  // 000000002B94: BF85003A
	s_lshr_b32 s32, s27, 6                                     // 000000002B98: 8F20861B
	v_cvt_f32_u32_e32 v4, s48                                  // 000000002B9C: 7E080C30
	s_sub_i32 s31, 0, s48                                      // 000000002BA0: 819F3080
	v_rcp_iflag_f32_e32 v4, v4                                 // 000000002BA4: 7E084704
	s_nop 0                                                    // 000000002BA8: BF800000
	v_mul_f32_e32 v4, 0x4f7ffffe, v4                           // 000000002BAC: 0A0808FF 4F7FFFFE
	v_cvt_u32_f32_e32 v4, v4                                   // 000000002BB4: 7E080F04
	v_mul_lo_u32 v5, s31, v4                                   // 000000002BB8: D2850005 0002081F
	v_mul_hi_u32 v5, v4, v5                                    // 000000002BC0: D2860005 00020B04
	v_add_u32_e32 v4, v4, v5                                   // 000000002BC8: 68080B04
	v_mul_hi_u32 v4, s32, v4                                   // 000000002BCC: D2860004 00020820
	v_mul_lo_u32 v5, v4, s48                                   // 000000002BD4: D2850005 00006104
	v_sub_u32_e32 v7, s32, v5                                  // 000000002BDC: 6A0E0A20
	v_add_u32_e32 v6, 1, v4                                    // 000000002BE0: 680C0881
	v_cmp_le_u32_e32 vcc, s48, v7                              // 000000002BE4: 7D960E30
	v_subrev_u32_e32 v5, s48, v7                               // 000000002BE8: 6C0A0E30
	s_nop 0                                                    // 000000002BEC: BF800000
	v_cndmask_b32_e32 v4, v4, v6, vcc                          // 000000002BF0: 00080D04
	v_cndmask_b32_e32 v7, v7, v5, vcc                          // 000000002BF4: 000E0B07
	v_add_u32_e32 v5, 1, v4                                    // 000000002BF8: 680A0881
	v_cmp_le_u32_e32 vcc, s48, v7                              // 000000002BFC: 7D960E30
	s_nop 1                                                    // 000000002C00: BF800001
	v_cndmask_b32_e32 v7, v4, v5, vcc                          // 000000002C04: 000E0B04
	s_nop 3                                                    // 000000002C08: BF800003
	v_readfirstlane_b32 s32, v7                                // 000000002C0C: 7E400507
	s_nop 3                                                    // 000000002C10: BF800003
	s_mul_i32 s32, s32, 64                                     // 000000002C14: 9220C020
	s_mul_i32 s31, s49, s32                                    // 000000002C18: 921F2031
	s_sub_i32 s52, s27, s31                                    // 000000002C1C: 81B41F1B
	s_sub_i32 s31, s48, 1                                      // 000000002C20: 819F8130
	s_cmp_eq_i32 s49, s31                                      // 000000002C24: BF001F31
	s_cselect_b32 s27, s52, s32                                // 000000002C28: 851B2034
	s_mul_i32 s31, s32, 2                                      // 000000002C2C: 921F8220
	s_mul_i32 s31, s31, s49                                    // 000000002C30: 921F311F
	v_add_u32_e64 v16, v16, s31                                // 000000002C34: D1340010 00003F10
	v_add_u32_e64 v17, v17, s31                                // 000000002C3C: D1340011 00003F11
	v_add_u32_e64 v18, v18, s31                                // 000000002C44: D1340012 00003F12
	v_add_u32_e64 v19, v19, s31                                // 000000002C4C: D1340013 00003F13
	v_add_u32_e64 v20, v20, s31                                // 000000002C54: D1340014 00003F14
	v_add_u32_e64 v21, v21, s31                                // 000000002C5C: D1340015 00003F15
	s_mul_i32 s31, s32, 2                                      // 000000002C64: 921F8220
	s_mul_i32 s31, s31, s49                                    // 000000002C68: 921F311F
	s_mul_i32 s31, s31, 16                                     // 000000002C6C: 921F901F
	v_add_u32_e64 v23, v23, s31                                // 000000002C70: D1340017 00003F17
	v_add_u32_e64 v24, v24, s31                                // 000000002C78: D1340018 00003F18

0000000000002c80 <label_00E0>:
	s_mul_i32 s31, s30, s25                                    // 000000002C80: 921F191E
	s_mov_b32 s18, s31                                         // 000000002C84: BE92001F
	s_cmp_lt_u32 s50, 1                                        // 000000002C88: BF0A8132
	s_cbranch_scc0 label_00FF                                  // 000000002C8C: BF84001B
	v_and_b32_e64 v12, v0, 15                                  // 000000002C90: D113000C 00011F00
	v_mul_lo_u32 v12, v12, s30                                 // 000000002C98: D285000C 00003D0C
	v_lshrrev_b32_e32 v4, 4, v0                                // 000000002CA0: 20080084
	v_mul_i32_i24_e32 v4, 16, v4                               // 000000002CA4: 0C080890
	v_add_u32_e32 v12, v4, v12                                 // 000000002CA8: 68181904
	s_mul_i32 s31, s23, 48                                     // 000000002CAC: 921FB017
	s_mul_i32 s31, s31, s30                                    // 000000002CB0: 921F1E1F
	v_add_u32_e32 v12, s31, v12                                // 000000002CB4: 6818181F
	s_mul_i32 s31, s22, 64                                     // 000000002CB8: 921FC016
	s_mul_i32 s31, s31, 4                                      // 000000002CBC: 921F841F
	v_add_u32_e32 v12, s31, v12                                // 000000002CC0: 6818181F
	s_mul_i32 s31, 64, s24                                     // 000000002CC4: 921F18C0
	v_add_u32_e32 v12, s31, v12                                // 000000002CC8: 6818181F
	s_mul_i32 s31, 16, s30                                     // 000000002CCC: 921F1E90
	v_add_u32_e32 v13, s31, v12                                // 000000002CD0: 681A181F
	v_add_u32_e32 v14, s31, v13                                // 000000002CD4: 681C1A1F
	s_mul_i32 s31, s23, 48                                     // 000000002CD8: 921FB017
	s_add_i32 s31, s31, s24                                    // 000000002CDC: 811F181F
	s_mul_i32 s31, s31, s30                                    // 000000002CE0: 921F1E1F
	s_mul_i32 s32, s22, 64                                     // 000000002CE4: 9220C016
	s_mul_i32 s32, s32, 4                                      // 000000002CE8: 92208420
	s_add_i32 s31, s31, s32                                    // 000000002CEC: 811F201F
	v_lshlrev_b32_e32 v15, 2, v0                               // 000000002CF0: 241E0082
	v_add_u32_e32 v15, s31, v15                                // 000000002CF4: 681E1E1F
	s_branch label_011F                                        // 000000002CF8: BF820020

0000000000002cfc <label_00FF>:
	v_and_b32_e64 v12, v0, 15                                  // 000000002CFC: D113000C 00011F00
	v_mul_lo_u32 v12, v12, s30                                 // 000000002D04: D285000C 00003D0C
	v_lshrrev_b32_e32 v4, 4, v0                                // 000000002D0C: 20080084
	v_mul_i32_i24_e32 v4, 8, v4                                // 000000002D10: 0C080888
	v_add_u32_e32 v12, v4, v12                                 // 000000002D14: 68181904
	s_mul_i32 s31, s23, 48                                     // 000000002D18: 921FB017
	s_mul_i32 s31, s31, s30                                    // 000000002D1C: 921F1E1F
	v_add_u32_e32 v12, s31, v12                                // 000000002D20: 6818181F
	s_mul_i32 s31, s22, 64                                     // 000000002D24: 921FC016
	s_mul_i32 s31, s31, 2                                      // 000000002D28: 921F821F
	v_add_u32_e32 v12, s31, v12                                // 000000002D2C: 6818181F
	s_mul_i32 s31, 32, s24                                     // 000000002D30: 921F18A0
	v_add_u32_e32 v12, s31, v12                                // 000000002D34: 6818181F
	s_mul_i32 s31, 16, s30                                     // 000000002D38: 921F1E90
	v_add_u32_e32 v13, s31, v12                                // 000000002D3C: 681A181F
	v_add_u32_e32 v14, s31, v13                                // 000000002D40: 681C1A1F
	s_mul_i32 s31, s23, 48                                     // 000000002D44: 921FB017
	s_add_i32 s31, s31, s24                                    // 000000002D48: 811F181F
	s_mul_i32 s31, s31, s30                                    // 000000002D4C: 921F1E1F
	s_mul_i32 s32, s22, 64                                     // 000000002D50: 9220C016
	s_mul_i32 s32, s32, 2                                      // 000000002D54: 92208220
	s_add_i32 s31, s31, s32                                    // 000000002D58: 811F201F
	v_lshrrev_b32_e32 v4, 5, v0                                // 000000002D5C: 20080085
	s_mul_i32 s32, s30, 4                                      // 000000002D60: 9220841E
	v_mul_lo_u32 v4, v4, s32                                   // 000000002D64: D2850004 00004104
	v_and_b32_e32 v5, 31, v0                                   // 000000002D6C: 260A009F
	v_lshlrev_b32_e32 v5, 2, v5                                // 000000002D70: 240A0A82
	v_add_u32_e32 v15, v4, v5                                  // 000000002D74: 681E0B04
	v_add_u32_e32 v15, s31, v15                                // 000000002D78: 681E1E1F

0000000000002d7c <label_011F>:
	s_cmp_eq_u32 s57, 1                                        // 000000002D7C: BF068139
	s_cbranch_scc0 label_014E                                  // 000000002D80: BF84002D
	s_cmp_eq_i32 s49, 0                                        // 000000002D84: BF008031
	s_cbranch_scc0 label_014E                                  // 000000002D88: BF84002B
	s_mul_i32 s31, 2, s26                                      // 000000002D8C: 921F1A82
	s_mov_b32 s38, s31                                         // 000000002D90: BEA6001F
	v_lshrrev_b32_e32 v4, 4, v0                                // 000000002D94: 20080084
	v_mul_i32_i24_e32 v46, 8, v4                               // 000000002D98: 0C5C0888
	s_mul_i32 s31, 32, s24                                     // 000000002D9C: 921F18A0
	v_add_u32_e32 v46, s31, v46                                // 000000002DA0: 685C5C1F
	s_mul_i32 s32, s22, 64                                     // 000000002DA4: 9220C016
	s_mul_i32 s32, s32, 2                                      // 000000002DA8: 92208220
	v_add_u32_e32 v46, s32, v46                                // 000000002DAC: 685C5C20
	v_mov_b32_e32 v48, 0                                       // 000000002DB0: 7E600280
	v_mov_b32_e32 v49, 0                                       // 000000002DB4: 7E620280
	buffer_load_dwordx2 v[48:49], v46, s[36:39], 0 offen       // 000000002DB8: E0541000 8009302E
	s_waitcnt vmcnt(0)                                         // 000000002DC0: BF8C0F70
	v_mov_b32_e32 v4, 0xffff0000                               // 000000002DC4: 7E0802FF FFFF0000
	v_and_b32_e32 v4, v48, v4                                  // 000000002DCC: 26080930
	v_mov_b32_e32 v5, 0xffff                                   // 000000002DD0: 7E0A02FF 0000FFFF
	v_and_b32_e32 v5, v48, v5                                  // 000000002DD8: 260A0B30
	v_mov_b32_e32 v51, v4                                      // 000000002DDC: 7E660304
	v_lshlrev_b32_e32 v50, 16, v5                              // 000000002DE0: 24640A90
	v_mov_b32_e32 v4, 0xffff0000                               // 000000002DE4: 7E0802FF FFFF0000
	v_and_b32_e32 v4, v49, v4                                  // 000000002DEC: 26080931
	v_mov_b32_e32 v5, 0xffff                                   // 000000002DF0: 7E0A02FF 0000FFFF
	v_and_b32_e32 v5, v49, v5                                  // 000000002DF8: 260A0B31
	v_mov_b32_e32 v53, v4                                      // 000000002DFC: 7E6A0304
	v_lshlrev_b32_e32 v52, 16, v5                              // 000000002E00: 24680A90
	v_mov_b32_e32 v28, v50                                     // 000000002E04: 7E380332
	v_mov_b32_e32 v29, v51                                     // 000000002E08: 7E3A0333
	v_mov_b32_e32 v30, v52                                     // 000000002E0C: 7E3C0334
	v_mov_b32_e32 v31, v53                                     // 000000002E10: 7E3E0335
	v_mov_b32_e32 v32, v50                                     // 000000002E14: 7E400332
	v_mov_b32_e32 v33, v51                                     // 000000002E18: 7E420333
	v_mov_b32_e32 v34, v52                                     // 000000002E1C: 7E440334
	v_mov_b32_e32 v35, v53                                     // 000000002E20: 7E460335
	v_mov_b32_e32 v36, v50                                     // 000000002E24: 7E480332
	v_mov_b32_e32 v37, v51                                     // 000000002E28: 7E4A0333
	v_mov_b32_e32 v38, v52                                     // 000000002E2C: 7E4C0334
	v_mov_b32_e32 v39, v53                                     // 000000002E30: 7E4E0335
	s_branch label_015A                                        // 000000002E34: BF82000C

0000000000002e38 <label_014E>:
	v_mov_b32_e32 v28, 0                                       // 000000002E38: 7E380280
	v_mov_b32_e32 v29, 0                                       // 000000002E3C: 7E3A0280
	v_mov_b32_e32 v30, 0                                       // 000000002E40: 7E3C0280
	v_mov_b32_e32 v31, 0                                       // 000000002E44: 7E3E0280
	v_mov_b32_e32 v32, 0                                       // 000000002E48: 7E400280
	v_mov_b32_e32 v33, 0                                       // 000000002E4C: 7E420280
	v_mov_b32_e32 v34, 0                                       // 000000002E50: 7E440280
	v_mov_b32_e32 v35, 0                                       // 000000002E54: 7E460280
	v_mov_b32_e32 v36, 0                                       // 000000002E58: 7E480280
	v_mov_b32_e32 v37, 0                                       // 000000002E5C: 7E4A0280
	v_mov_b32_e32 v38, 0                                       // 000000002E60: 7E4C0280
	v_mov_b32_e32 v39, 0                                       // 000000002E64: 7E4E0280

0000000000002e68 <label_015A>:
	s_add_u32 m0, 0, s42                                       // 000000002E68: 807C2A80
	buffer_load_dword v16, s[4:7], 0 offen lds                 // 000000002E6C: E0511000 80010010
	s_add_u32 m0, 0x100, s42                                   // 000000002E74: 807C2AFF 00000100
	buffer_load_dword v17, s[4:7], 0 offen lds                 // 000000002E7C: E0511000 80010011
	s_add_u32 m0, 0x200, s42                                   // 000000002E84: 807C2AFF 00000200
	buffer_load_dword v18, s[4:7], 0 offen lds                 // 000000002E8C: E0511000 80010012
	s_add_u32 m0, 0x300, s42                                   // 000000002E94: 807C2AFF 00000300
	buffer_load_dword v19, s[4:7], 0 offen lds                 // 000000002E9C: E0511000 80010013
	s_add_u32 m0, 0x400, s42                                   // 000000002EA4: 807C2AFF 00000400
	buffer_load_dword v20, s[4:7], 0 offen lds                 // 000000002EAC: E0511000 80010014
	s_add_u32 m0, 0x500, s42                                   // 000000002EB4: 807C2AFF 00000500
	buffer_load_dword v21, s[4:7], 0 offen lds                 // 000000002EBC: E0511000 80010015
	s_add_u32 s4, s40, s4                                      // 000000002EC4: 80040428
	s_addc_u32 s5, 0, s5                                       // 000000002EC8: 82050580
	s_sub_u32 s6, s6, s40                                      // 000000002ECC: 80862806
	buffer_load_dwordx4 a[48:51], v23, s[8:11], 0 offen        // 000000002ED0: E05C1000 80823017
	buffer_load_dwordx4 a[52:55], v24, s[8:11], 0 offen        // 000000002ED8: E05C1000 80823418
	s_add_u32 s8, s41, s8                                      // 000000002EE0: 80080829
	s_addc_u32 s9, 0, s9                                       // 000000002EE4: 82090980
	s_sub_u32 s10, s10, s41                                    // 000000002EE8: 808A290A
	s_add_u32 m0, 0, s43                                       // 000000002EEC: 807C2B80
	buffer_load_dword v16, s[4:7], 0 offen lds                 // 000000002EF0: E0511000 80010010
	s_add_u32 m0, 0x100, s43                                   // 000000002EF8: 807C2BFF 00000100
	buffer_load_dword v17, s[4:7], 0 offen lds                 // 000000002F00: E0511000 80010011
	s_add_u32 m0, 0x200, s43                                   // 000000002F08: 807C2BFF 00000200
	buffer_load_dword v18, s[4:7], 0 offen lds                 // 000000002F10: E0511000 80010012
	s_add_u32 m0, 0x300, s43                                   // 000000002F18: 807C2BFF 00000300
	buffer_load_dword v19, s[4:7], 0 offen lds                 // 000000002F20: E0511000 80010013
	s_add_u32 m0, 0x400, s43                                   // 000000002F28: 807C2BFF 00000400
	buffer_load_dword v20, s[4:7], 0 offen lds                 // 000000002F30: E0511000 80010014
	s_add_u32 m0, 0x500, s43                                   // 000000002F38: 807C2BFF 00000500
	buffer_load_dword v21, s[4:7], 0 offen lds                 // 000000002F40: E0511000 80010015
	s_add_u32 s4, s40, s4                                      // 000000002F48: 80040428
	s_addc_u32 s5, 0, s5                                       // 000000002F4C: 82050580
	s_sub_u32 s6, s6, s40                                      // 000000002F50: 80862806
	buffer_load_dwordx4 a[56:59], v23, s[8:11], 0 offen        // 000000002F54: E05C1000 80823817
	buffer_load_dwordx4 a[60:63], v24, s[8:11], 0 offen        // 000000002F5C: E05C1000 80823C18
	s_add_u32 s8, s41, s8                                      // 000000002F64: 80080829
	s_addc_u32 s9, 0, s9                                       // 000000002F68: 82090980
	s_sub_u32 s10, s10, s41                                    // 000000002F6C: 808A290A
	s_add_u32 m0, 0, s44                                       // 000000002F70: 807C2C80
	buffer_load_dword v16, s[4:7], 0 offen lds                 // 000000002F74: E0511000 80010010
	s_add_u32 m0, 0x100, s44                                   // 000000002F7C: 807C2CFF 00000100
	buffer_load_dword v17, s[4:7], 0 offen lds                 // 000000002F84: E0511000 80010011
	s_add_u32 m0, 0x200, s44                                   // 000000002F8C: 807C2CFF 00000200
	buffer_load_dword v18, s[4:7], 0 offen lds                 // 000000002F94: E0511000 80010012
	s_add_u32 m0, 0x300, s44                                   // 000000002F9C: 807C2CFF 00000300
	buffer_load_dword v19, s[4:7], 0 offen lds                 // 000000002FA4: E0511000 80010013
	s_add_u32 m0, 0x400, s44                                   // 000000002FAC: 807C2CFF 00000400
	buffer_load_dword v20, s[4:7], 0 offen lds                 // 000000002FB4: E0511000 80010014
	s_add_u32 m0, 0x500, s44                                   // 000000002FBC: 807C2CFF 00000500
	buffer_load_dword v21, s[4:7], 0 offen lds                 // 000000002FC4: E0511000 80010015
	s_add_u32 s4, s40, s4                                      // 000000002FCC: 80040428
	s_addc_u32 s5, 0, s5                                       // 000000002FD0: 82050580
	s_sub_u32 s6, s6, s40                                      // 000000002FD4: 80862806
	s_mov_b32 s34, s27                                         // 000000002FD8: BEA2001B
	s_mov_b32 s33, 0                                           // 000000002FDC: BEA10080
	s_mul_i32 s31, s23, 48                                     // 000000002FE0: 921FB017
	s_sub_i32 s51, s25, s31                                    // 000000002FE4: 81B31F19
	s_waitcnt vmcnt(16)                                        // 000000002FE8: BF8C4F70
	s_barrier                                                  // 000000002FEC: BF8A0000
	ds_read_b128 a[0:3], v22                                   // 000000002FF0: DBFE0000 00000016
	ds_read_b128 a[4:7], v22 offset:64                         // 000000002FF8: DBFE0040 04000016
	ds_read_b128 a[8:11], v22 offset:512                       // 000000003000: DBFE0200 08000016
	ds_read_b128 a[12:15], v22 offset:576                      // 000000003008: DBFE0240 0C000016
	ds_read_b128 a[16:19], v22 offset:1024                     // 000000003010: DBFE0400 10000016
	ds_read_b128 a[20:23], v22 offset:1088                     // 000000003018: DBFE0440 14000016
	s_cmp_lt_i32 s24, 2                                        // 000000003020: BF048218
	s_cbranch_scc0 label_03AB                                  // 000000003024: BF8401E1

0000000000003028 <label_01CA>:
	s_waitcnt vmcnt(8) lgkmcnt(0)                              // 000000003028: BF8C0078
	s_barrier                                                  // 00000000302C: BF8A0000
	v_mfma_f32_16x16x16_bf16 v[28:31], a[48:49], a[0:1], v[28:31]// 000000003030: D3E1001C 1C720130
	s_add_u32 m0, 0, s42                                       // 000000003038: 807C2A80
	buffer_load_dword v16, s[4:7], 0 offen lds                 // 00000000303C: E0511000 80010010
	v_mfma_f32_16x16x16_bf16 v[28:31], a[50:51], a[2:3], v[28:31]// 000000003044: D3E1001C 1C720532
	s_add_u32 m0, 0x100, s42                                   // 00000000304C: 807C2AFF 00000100
	buffer_load_dword v17, s[4:7], 0 offen lds                 // 000000003054: E0511000 80010011
	ds_read_b128 a[24:27], v22 offset:6272                     // 00000000305C: DBFE1880 18000016
	ds_read_b128 a[28:31], v22 offset:6336                     // 000000003064: DBFE18C0 1C000016
	v_mfma_f32_16x16x16_bf16 v[28:31], a[52:53], a[4:5], v[28:31]// 00000000306C: D3E1001C 1C720934
	s_add_u32 m0, 0x200, s42                                   // 000000003074: 807C2AFF 00000200
	buffer_load_dword v18, s[4:7], 0 offen lds                 // 00000000307C: E0511000 80010012
	v_mfma_f32_16x16x16_bf16 v[28:31], a[54:55], a[6:7], v[28:31]// 000000003084: D3E1001C 1C720D36
	s_add_u32 m0, 0x300, s42                                   // 00000000308C: 807C2AFF 00000300
	buffer_load_dword v19, s[4:7], 0 offen lds                 // 000000003094: E0511000 80010013
	ds_read_b128 a[32:35], v22 offset:6784                     // 00000000309C: DBFE1A80 20000016
	ds_read_b128 a[36:39], v22 offset:6848                     // 0000000030A4: DBFE1AC0 24000016
	v_mfma_f32_16x16x16_bf16 v[32:35], a[48:49], a[8:9], v[32:35]// 0000000030AC: D3E10020 1C821130
	s_add_u32 m0, 0x400, s42                                   // 0000000030B4: 807C2AFF 00000400
	buffer_load_dword v20, s[4:7], 0 offen lds                 // 0000000030BC: E0511000 80010014
	v_mfma_f32_16x16x16_bf16 v[32:35], a[50:51], a[10:11], v[32:35]// 0000000030C4: D3E10020 1C821532
	s_add_u32 m0, 0x500, s42                                   // 0000000030CC: 807C2AFF 00000500
	buffer_load_dword v21, s[4:7], 0 offen lds                 // 0000000030D4: E0511000 80010015
	ds_read_b128 a[40:43], v22 offset:7296                     // 0000000030DC: DBFE1C80 28000016
	ds_read_b128 a[44:47], v22 offset:7360                     // 0000000030E4: DBFE1CC0 2C000016
	v_mfma_f32_16x16x16_bf16 v[32:35], a[52:53], a[12:13], v[32:35]// 0000000030EC: D3E10020 1C821934
	s_add_u32 s31, 0x100, s33                                  // 0000000030F4: 801F21FF 00000100
	s_cmp_lt_u32 s31, s34                                      // 0000000030FC: BF0A221F
	s_cselect_b32 s40, s40, 0                                  // 000000003100: 85288028
	buffer_load_dwordx4 a[64:67], v23, s[8:11], 0 offen        // 000000003104: E05C1000 80824017
	v_mfma_f32_16x16x16_bf16 v[32:35], a[54:55], a[14:15], v[32:35]// 00000000310C: D3E10020 1C821D36
	buffer_load_dwordx4 a[68:71], v24, s[8:11], 0 offen        // 000000003114: E05C1000 80824418
	s_add_u32 s4, s40, s4                                      // 00000000311C: 80040428
	s_addc_u32 s5, 0, s5                                       // 000000003120: 82050580
	v_mfma_f32_16x16x16_bf16 v[36:39], a[48:49], a[16:17], v[36:39]// 000000003124: D3E10024 1C922130
	s_add_u32 s31, 0xc0, s33                                   // 00000000312C: 801F21FF 000000C0
	s_cmp_lt_u32 s31, s34                                      // 000000003134: BF0A221F
	s_cselect_b32 s41, s41, 0                                  // 000000003138: 85298029
	v_mfma_f32_16x16x16_bf16 v[36:39], a[50:51], a[18:19], v[36:39]// 00000000313C: D3E10024 1C922532
	s_add_u32 s8, s41, s8                                      // 000000003144: 80080829
	s_addc_u32 s9, 0, s9                                       // 000000003148: 82090980
	v_mfma_f32_16x16x16_bf16 v[36:39], a[52:53], a[20:21], v[36:39]// 00000000314C: D3E10024 1C922934
	v_mfma_f32_16x16x16_bf16 v[36:39], a[54:55], a[22:23], v[36:39]// 000000003154: D3E10024 1C922D36
	s_addk_i32 s33, 0x40                                       // 00000000315C: B7210040
	s_cmp_lt_i32 s33, s34                                      // 000000003160: BF042221
	s_cbranch_scc0 label_058C                                  // 000000003164: BF840372
	s_waitcnt vmcnt(8) lgkmcnt(0)                              // 000000003168: BF8C0078
	s_barrier                                                  // 00000000316C: BF8A0000
	v_mfma_f32_16x16x16_bf16 v[28:31], a[56:57], a[24:25], v[28:31]// 000000003170: D3E1001C 1C723138
	s_add_u32 m0, 0, s43                                       // 000000003178: 807C2B80
	buffer_load_dword v16, s[4:7], 0 offen lds                 // 00000000317C: E0511000 80010010
	v_mfma_f32_16x16x16_bf16 v[28:31], a[58:59], a[26:27], v[28:31]// 000000003184: D3E1001C 1C72353A
	s_add_u32 m0, 0x100, s43                                   // 00000000318C: 807C2BFF 00000100
	buffer_load_dword v17, s[4:7], 0 offen lds                 // 000000003194: E0511000 80010011
	ds_read_b128 a[0:3], v22 offset:12544                      // 00000000319C: DBFE3100 00000016
	ds_read_b128 a[4:7], v22 offset:12608                      // 0000000031A4: DBFE3140 04000016
	v_mfma_f32_16x16x16_bf16 v[28:31], a[60:61], a[28:29], v[28:31]// 0000000031AC: D3E1001C 1C72393C
	s_add_u32 m0, 0x200, s43                                   // 0000000031B4: 807C2BFF 00000200
	buffer_load_dword v18, s[4:7], 0 offen lds                 // 0000000031BC: E0511000 80010012
	v_mfma_f32_16x16x16_bf16 v[28:31], a[62:63], a[30:31], v[28:31]// 0000000031C4: D3E1001C 1C723D3E
	s_add_u32 m0, 0x300, s43                                   // 0000000031CC: 807C2BFF 00000300
	buffer_load_dword v19, s[4:7], 0 offen lds                 // 0000000031D4: E0511000 80010013
	ds_read_b128 a[8:11], v22 offset:13056                     // 0000000031DC: DBFE3300 08000016
	ds_read_b128 a[12:15], v22 offset:13120                    // 0000000031E4: DBFE3340 0C000016
	v_mfma_f32_16x16x16_bf16 v[32:35], a[56:57], a[32:33], v[32:35]// 0000000031EC: D3E10020 1C824138
	s_add_u32 m0, 0x400, s43                                   // 0000000031F4: 807C2BFF 00000400
	buffer_load_dword v20, s[4:7], 0 offen lds                 // 0000000031FC: E0511000 80010014
	v_mfma_f32_16x16x16_bf16 v[32:35], a[58:59], a[34:35], v[32:35]// 000000003204: D3E10020 1C82453A
	s_add_u32 m0, 0x500, s43                                   // 00000000320C: 807C2BFF 00000500
	buffer_load_dword v21, s[4:7], 0 offen lds                 // 000000003214: E0511000 80010015
	ds_read_b128 a[16:19], v22 offset:13568                    // 00000000321C: DBFE3500 10000016
	ds_read_b128 a[20:23], v22 offset:13632                    // 000000003224: DBFE3540 14000016
	v_mfma_f32_16x16x16_bf16 v[32:35], a[60:61], a[36:37], v[32:35]// 00000000322C: D3E10020 1C82493C
	s_add_u32 s31, 0x100, s33                                  // 000000003234: 801F21FF 00000100
	s_cmp_lt_u32 s31, s34                                      // 00000000323C: BF0A221F
	s_cselect_b32 s40, s40, 0                                  // 000000003240: 85288028
	buffer_load_dwordx4 a[48:51], v23, s[8:11], 0 offen        // 000000003244: E05C1000 80823017
	v_mfma_f32_16x16x16_bf16 v[32:35], a[62:63], a[38:39], v[32:35]// 00000000324C: D3E10020 1C824D3E
	buffer_load_dwordx4 a[52:55], v24, s[8:11], 0 offen        // 000000003254: E05C1000 80823418
	s_add_u32 s4, s40, s4                                      // 00000000325C: 80040428
	s_addc_u32 s5, 0, s5                                       // 000000003260: 82050580
	v_mfma_f32_16x16x16_bf16 v[36:39], a[56:57], a[40:41], v[36:39]// 000000003264: D3E10024 1C925138
	s_add_u32 s31, 0xc0, s33                                   // 00000000326C: 801F21FF 000000C0
	s_cmp_lt_u32 s31, s34                                      // 000000003274: BF0A221F
	s_cselect_b32 s41, s41, 0                                  // 000000003278: 85298029
	v_mfma_f32_16x16x16_bf16 v[36:39], a[58:59], a[42:43], v[36:39]// 00000000327C: D3E10024 1C92553A
	s_add_u32 s8, s41, s8                                      // 000000003284: 80080829
	s_addc_u32 s9, 0, s9                                       // 000000003288: 82090980
	v_mfma_f32_16x16x16_bf16 v[36:39], a[60:61], a[44:45], v[36:39]// 00000000328C: D3E10024 1C92593C
	v_mfma_f32_16x16x16_bf16 v[36:39], a[62:63], a[46:47], v[36:39]// 000000003294: D3E10024 1C925D3E
	s_addk_i32 s33, 0x40                                       // 00000000329C: B7210040
	s_cmp_lt_i32 s33, s34                                      // 0000000032A0: BF042221
	s_cbranch_scc0 label_058C                                  // 0000000032A4: BF840322
	s_waitcnt vmcnt(8) lgkmcnt(0)                              // 0000000032A8: BF8C0078
	s_barrier                                                  // 0000000032AC: BF8A0000
	v_mfma_f32_16x16x16_bf16 v[28:31], a[64:65], a[0:1], v[28:31]// 0000000032B0: D3E1001C 1C720140
	s_add_u32 m0, 0, s44                                       // 0000000032B8: 807C2C80
	buffer_load_dword v16, s[4:7], 0 offen lds                 // 0000000032BC: E0511000 80010010
	v_mfma_f32_16x16x16_bf16 v[28:31], a[66:67], a[2:3], v[28:31]// 0000000032C4: D3E1001C 1C720542
	s_add_u32 m0, 0x100, s44                                   // 0000000032CC: 807C2CFF 00000100
	buffer_load_dword v17, s[4:7], 0 offen lds                 // 0000000032D4: E0511000 80010011
	ds_read_b128 a[24:27], v22                                 // 0000000032DC: DBFE0000 18000016
	ds_read_b128 a[28:31], v22 offset:64                       // 0000000032E4: DBFE0040 1C000016
	v_mfma_f32_16x16x16_bf16 v[28:31], a[68:69], a[4:5], v[28:31]// 0000000032EC: D3E1001C 1C720944
	s_add_u32 m0, 0x200, s44                                   // 0000000032F4: 807C2CFF 00000200
	buffer_load_dword v18, s[4:7], 0 offen lds                 // 0000000032FC: E0511000 80010012
	v_mfma_f32_16x16x16_bf16 v[28:31], a[70:71], a[6:7], v[28:31]// 000000003304: D3E1001C 1C720D46
	s_add_u32 m0, 0x300, s44                                   // 00000000330C: 807C2CFF 00000300
	buffer_load_dword v19, s[4:7], 0 offen lds                 // 000000003314: E0511000 80010013
	ds_read_b128 a[32:35], v22 offset:512                      // 00000000331C: DBFE0200 20000016
	ds_read_b128 a[36:39], v22 offset:576                      // 000000003324: DBFE0240 24000016
	v_mfma_f32_16x16x16_bf16 v[32:35], a[64:65], a[8:9], v[32:35]// 00000000332C: D3E10020 1C821140
	s_add_u32 m0, 0x400, s44                                   // 000000003334: 807C2CFF 00000400
	buffer_load_dword v20, s[4:7], 0 offen lds                 // 00000000333C: E0511000 80010014
	v_mfma_f32_16x16x16_bf16 v[32:35], a[66:67], a[10:11], v[32:35]// 000000003344: D3E10020 1C821542
	s_add_u32 m0, 0x500, s44                                   // 00000000334C: 807C2CFF 00000500
	buffer_load_dword v21, s[4:7], 0 offen lds                 // 000000003354: E0511000 80010015
	ds_read_b128 a[40:43], v22 offset:1024                     // 00000000335C: DBFE0400 28000016
	ds_read_b128 a[44:47], v22 offset:1088                     // 000000003364: DBFE0440 2C000016
	v_mfma_f32_16x16x16_bf16 v[32:35], a[68:69], a[12:13], v[32:35]// 00000000336C: D3E10020 1C821944
	s_add_u32 s31, 0x100, s33                                  // 000000003374: 801F21FF 00000100
	s_cmp_lt_u32 s31, s34                                      // 00000000337C: BF0A221F
	s_cselect_b32 s40, s40, 0                                  // 000000003380: 85288028
	buffer_load_dwordx4 a[56:59], v23, s[8:11], 0 offen        // 000000003384: E05C1000 80823817
	v_mfma_f32_16x16x16_bf16 v[32:35], a[70:71], a[14:15], v[32:35]// 00000000338C: D3E10020 1C821D46
	buffer_load_dwordx4 a[60:63], v24, s[8:11], 0 offen        // 000000003394: E05C1000 80823C18
	s_add_u32 s4, s40, s4                                      // 00000000339C: 80040428
	s_addc_u32 s5, 0, s5                                       // 0000000033A0: 82050580
	v_mfma_f32_16x16x16_bf16 v[36:39], a[64:65], a[16:17], v[36:39]// 0000000033A4: D3E10024 1C922140
	s_add_u32 s31, 0xc0, s33                                   // 0000000033AC: 801F21FF 000000C0
	s_cmp_lt_u32 s31, s34                                      // 0000000033B4: BF0A221F
	s_cselect_b32 s41, s41, 0                                  // 0000000033B8: 85298029
	v_mfma_f32_16x16x16_bf16 v[36:39], a[66:67], a[18:19], v[36:39]// 0000000033BC: D3E10024 1C922542
	s_add_u32 s8, s41, s8                                      // 0000000033C4: 80080829
	s_addc_u32 s9, 0, s9                                       // 0000000033C8: 82090980
	v_mfma_f32_16x16x16_bf16 v[36:39], a[68:69], a[20:21], v[36:39]// 0000000033CC: D3E10024 1C922944
	v_mfma_f32_16x16x16_bf16 v[36:39], a[70:71], a[22:23], v[36:39]// 0000000033D4: D3E10024 1C922D46
	s_addk_i32 s33, 0x40                                       // 0000000033DC: B7210040
	s_cmp_lt_i32 s33, s34                                      // 0000000033E0: BF042221
	s_cbranch_scc0 label_058C                                  // 0000000033E4: BF8402D2
	s_waitcnt vmcnt(8) lgkmcnt(0)                              // 0000000033E8: BF8C0078
	s_barrier                                                  // 0000000033EC: BF8A0000
	v_mfma_f32_16x16x16_bf16 v[28:31], a[48:49], a[24:25], v[28:31]// 0000000033F0: D3E1001C 1C723130
	s_add_u32 m0, 0, s42                                       // 0000000033F8: 807C2A80
	buffer_load_dword v16, s[4:7], 0 offen lds                 // 0000000033FC: E0511000 80010010
	v_mfma_f32_16x16x16_bf16 v[28:31], a[50:51], a[26:27], v[28:31]// 000000003404: D3E1001C 1C723532
	s_add_u32 m0, 0x100, s42                                   // 00000000340C: 807C2AFF 00000100
	buffer_load_dword v17, s[4:7], 0 offen lds                 // 000000003414: E0511000 80010011
	ds_read_b128 a[0:3], v22 offset:6272                       // 00000000341C: DBFE1880 00000016
	ds_read_b128 a[4:7], v22 offset:6336                       // 000000003424: DBFE18C0 04000016
	v_mfma_f32_16x16x16_bf16 v[28:31], a[52:53], a[28:29], v[28:31]// 00000000342C: D3E1001C 1C723934
	s_add_u32 m0, 0x200, s42                                   // 000000003434: 807C2AFF 00000200
	buffer_load_dword v18, s[4:7], 0 offen lds                 // 00000000343C: E0511000 80010012
	v_mfma_f32_16x16x16_bf16 v[28:31], a[54:55], a[30:31], v[28:31]// 000000003444: D3E1001C 1C723D36
	s_add_u32 m0, 0x300, s42                                   // 00000000344C: 807C2AFF 00000300
	buffer_load_dword v19, s[4:7], 0 offen lds                 // 000000003454: E0511000 80010013
	ds_read_b128 a[8:11], v22 offset:6784                      // 00000000345C: DBFE1A80 08000016
	ds_read_b128 a[12:15], v22 offset:6848                     // 000000003464: DBFE1AC0 0C000016
	v_mfma_f32_16x16x16_bf16 v[32:35], a[48:49], a[32:33], v[32:35]// 00000000346C: D3E10020 1C824130
	s_add_u32 m0, 0x400, s42                                   // 000000003474: 807C2AFF 00000400
	buffer_load_dword v20, s[4:7], 0 offen lds                 // 00000000347C: E0511000 80010014
	v_mfma_f32_16x16x16_bf16 v[32:35], a[50:51], a[34:35], v[32:35]// 000000003484: D3E10020 1C824532
	s_add_u32 m0, 0x500, s42                                   // 00000000348C: 807C2AFF 00000500
	buffer_load_dword v21, s[4:7], 0 offen lds                 // 000000003494: E0511000 80010015
	ds_read_b128 a[16:19], v22 offset:7296                     // 00000000349C: DBFE1C80 10000016
	ds_read_b128 a[20:23], v22 offset:7360                     // 0000000034A4: DBFE1CC0 14000016
	v_mfma_f32_16x16x16_bf16 v[32:35], a[52:53], a[36:37], v[32:35]// 0000000034AC: D3E10020 1C824934
	s_add_u32 s31, 0x100, s33                                  // 0000000034B4: 801F21FF 00000100
	s_cmp_lt_u32 s31, s34                                      // 0000000034BC: BF0A221F
	s_cselect_b32 s40, s40, 0                                  // 0000000034C0: 85288028
	buffer_load_dwordx4 a[64:67], v23, s[8:11], 0 offen        // 0000000034C4: E05C1000 80824017
	v_mfma_f32_16x16x16_bf16 v[32:35], a[54:55], a[38:39], v[32:35]// 0000000034CC: D3E10020 1C824D36
	buffer_load_dwordx4 a[68:71], v24, s[8:11], 0 offen        // 0000000034D4: E05C1000 80824418
	s_add_u32 s4, s40, s4                                      // 0000000034DC: 80040428
	s_addc_u32 s5, 0, s5                                       // 0000000034E0: 82050580
	v_mfma_f32_16x16x16_bf16 v[36:39], a[48:49], a[40:41], v[36:39]// 0000000034E4: D3E10024 1C925130
	s_add_u32 s31, 0xc0, s33                                   // 0000000034EC: 801F21FF 000000C0
	s_cmp_lt_u32 s31, s34                                      // 0000000034F4: BF0A221F
	s_cselect_b32 s41, s41, 0                                  // 0000000034F8: 85298029
	v_mfma_f32_16x16x16_bf16 v[36:39], a[50:51], a[42:43], v[36:39]// 0000000034FC: D3E10024 1C925532
	s_add_u32 s8, s41, s8                                      // 000000003504: 80080829
	s_addc_u32 s9, 0, s9                                       // 000000003508: 82090980
	v_mfma_f32_16x16x16_bf16 v[36:39], a[52:53], a[44:45], v[36:39]// 00000000350C: D3E10024 1C925934
	v_mfma_f32_16x16x16_bf16 v[36:39], a[54:55], a[46:47], v[36:39]// 000000003514: D3E10024 1C925D36
	s_addk_i32 s33, 0x40                                       // 00000000351C: B7210040
	s_cmp_lt_i32 s33, s34                                      // 000000003520: BF042221
	s_cbranch_scc0 label_058C                                  // 000000003524: BF840282
	s_waitcnt vmcnt(8) lgkmcnt(0)                              // 000000003528: BF8C0078
	s_barrier                                                  // 00000000352C: BF8A0000
	v_mfma_f32_16x16x16_bf16 v[28:31], a[56:57], a[0:1], v[28:31]// 000000003530: D3E1001C 1C720138
	s_add_u32 m0, 0, s43                                       // 000000003538: 807C2B80
	buffer_load_dword v16, s[4:7], 0 offen lds                 // 00000000353C: E0511000 80010010
	v_mfma_f32_16x16x16_bf16 v[28:31], a[58:59], a[2:3], v[28:31]// 000000003544: D3E1001C 1C72053A
	s_add_u32 m0, 0x100, s43                                   // 00000000354C: 807C2BFF 00000100
	buffer_load_dword v17, s[4:7], 0 offen lds                 // 000000003554: E0511000 80010011
	ds_read_b128 a[24:27], v22 offset:12544                    // 00000000355C: DBFE3100 18000016
	ds_read_b128 a[28:31], v22 offset:12608                    // 000000003564: DBFE3140 1C000016
	v_mfma_f32_16x16x16_bf16 v[28:31], a[60:61], a[4:5], v[28:31]// 00000000356C: D3E1001C 1C72093C
	s_add_u32 m0, 0x200, s43                                   // 000000003574: 807C2BFF 00000200
	buffer_load_dword v18, s[4:7], 0 offen lds                 // 00000000357C: E0511000 80010012
	v_mfma_f32_16x16x16_bf16 v[28:31], a[62:63], a[6:7], v[28:31]// 000000003584: D3E1001C 1C720D3E
	s_add_u32 m0, 0x300, s43                                   // 00000000358C: 807C2BFF 00000300
	buffer_load_dword v19, s[4:7], 0 offen lds                 // 000000003594: E0511000 80010013
	ds_read_b128 a[32:35], v22 offset:13056                    // 00000000359C: DBFE3300 20000016
	ds_read_b128 a[36:39], v22 offset:13120                    // 0000000035A4: DBFE3340 24000016
	v_mfma_f32_16x16x16_bf16 v[32:35], a[56:57], a[8:9], v[32:35]// 0000000035AC: D3E10020 1C821138
	s_add_u32 m0, 0x400, s43                                   // 0000000035B4: 807C2BFF 00000400
	buffer_load_dword v20, s[4:7], 0 offen lds                 // 0000000035BC: E0511000 80010014
	v_mfma_f32_16x16x16_bf16 v[32:35], a[58:59], a[10:11], v[32:35]// 0000000035C4: D3E10020 1C82153A
	s_add_u32 m0, 0x500, s43                                   // 0000000035CC: 807C2BFF 00000500
	buffer_load_dword v21, s[4:7], 0 offen lds                 // 0000000035D4: E0511000 80010015
	ds_read_b128 a[40:43], v22 offset:13568                    // 0000000035DC: DBFE3500 28000016
	ds_read_b128 a[44:47], v22 offset:13632                    // 0000000035E4: DBFE3540 2C000016
	v_mfma_f32_16x16x16_bf16 v[32:35], a[60:61], a[12:13], v[32:35]// 0000000035EC: D3E10020 1C82193C
	s_add_u32 s31, 0x100, s33                                  // 0000000035F4: 801F21FF 00000100
	s_cmp_lt_u32 s31, s34                                      // 0000000035FC: BF0A221F
	s_cselect_b32 s40, s40, 0                                  // 000000003600: 85288028
	buffer_load_dwordx4 a[48:51], v23, s[8:11], 0 offen        // 000000003604: E05C1000 80823017
	v_mfma_f32_16x16x16_bf16 v[32:35], a[62:63], a[14:15], v[32:35]// 00000000360C: D3E10020 1C821D3E
	buffer_load_dwordx4 a[52:55], v24, s[8:11], 0 offen        // 000000003614: E05C1000 80823418
	s_add_u32 s4, s40, s4                                      // 00000000361C: 80040428
	s_addc_u32 s5, 0, s5                                       // 000000003620: 82050580
	v_mfma_f32_16x16x16_bf16 v[36:39], a[56:57], a[16:17], v[36:39]// 000000003624: D3E10024 1C922138
	s_add_u32 s31, 0xc0, s33                                   // 00000000362C: 801F21FF 000000C0
	s_cmp_lt_u32 s31, s34                                      // 000000003634: BF0A221F
	s_cselect_b32 s41, s41, 0                                  // 000000003638: 85298029
	v_mfma_f32_16x16x16_bf16 v[36:39], a[58:59], a[18:19], v[36:39]// 00000000363C: D3E10024 1C92253A
	s_add_u32 s8, s41, s8                                      // 000000003644: 80080829
	s_addc_u32 s9, 0, s9                                       // 000000003648: 82090980
	v_mfma_f32_16x16x16_bf16 v[36:39], a[60:61], a[20:21], v[36:39]// 00000000364C: D3E10024 1C92293C
	v_mfma_f32_16x16x16_bf16 v[36:39], a[62:63], a[22:23], v[36:39]// 000000003654: D3E10024 1C922D3E
	s_addk_i32 s33, 0x40                                       // 00000000365C: B7210040
	s_cmp_lt_i32 s33, s34                                      // 000000003660: BF042221
	s_cbranch_scc0 label_058C                                  // 000000003664: BF840232
	s_waitcnt vmcnt(8) lgkmcnt(0)                              // 000000003668: BF8C0078
	s_barrier                                                  // 00000000366C: BF8A0000
	v_mfma_f32_16x16x16_bf16 v[28:31], a[64:65], a[24:25], v[28:31]// 000000003670: D3E1001C 1C723140
	s_add_u32 m0, 0, s44                                       // 000000003678: 807C2C80
	buffer_load_dword v16, s[4:7], 0 offen lds                 // 00000000367C: E0511000 80010010
	v_mfma_f32_16x16x16_bf16 v[28:31], a[66:67], a[26:27], v[28:31]// 000000003684: D3E1001C 1C723542
	s_add_u32 m0, 0x100, s44                                   // 00000000368C: 807C2CFF 00000100
	buffer_load_dword v17, s[4:7], 0 offen lds                 // 000000003694: E0511000 80010011
	ds_read_b128 a[0:3], v22                                   // 00000000369C: DBFE0000 00000016
	ds_read_b128 a[4:7], v22 offset:64                         // 0000000036A4: DBFE0040 04000016
	v_mfma_f32_16x16x16_bf16 v[28:31], a[68:69], a[28:29], v[28:31]// 0000000036AC: D3E1001C 1C723944
	s_add_u32 m0, 0x200, s44                                   // 0000000036B4: 807C2CFF 00000200
	buffer_load_dword v18, s[4:7], 0 offen lds                 // 0000000036BC: E0511000 80010012
	v_mfma_f32_16x16x16_bf16 v[28:31], a[70:71], a[30:31], v[28:31]// 0000000036C4: D3E1001C 1C723D46
	s_add_u32 m0, 0x300, s44                                   // 0000000036CC: 807C2CFF 00000300
	buffer_load_dword v19, s[4:7], 0 offen lds                 // 0000000036D4: E0511000 80010013
	ds_read_b128 a[8:11], v22 offset:512                       // 0000000036DC: DBFE0200 08000016
	ds_read_b128 a[12:15], v22 offset:576                      // 0000000036E4: DBFE0240 0C000016
	v_mfma_f32_16x16x16_bf16 v[32:35], a[64:65], a[32:33], v[32:35]// 0000000036EC: D3E10020 1C824140
	s_add_u32 m0, 0x400, s44                                   // 0000000036F4: 807C2CFF 00000400
	buffer_load_dword v20, s[4:7], 0 offen lds                 // 0000000036FC: E0511000 80010014
	v_mfma_f32_16x16x16_bf16 v[32:35], a[66:67], a[34:35], v[32:35]// 000000003704: D3E10020 1C824542
	s_add_u32 m0, 0x500, s44                                   // 00000000370C: 807C2CFF 00000500
	buffer_load_dword v21, s[4:7], 0 offen lds                 // 000000003714: E0511000 80010015
	ds_read_b128 a[16:19], v22 offset:1024                     // 00000000371C: DBFE0400 10000016
	ds_read_b128 a[20:23], v22 offset:1088                     // 000000003724: DBFE0440 14000016
	v_mfma_f32_16x16x16_bf16 v[32:35], a[68:69], a[36:37], v[32:35]// 00000000372C: D3E10020 1C824944
	s_add_u32 s31, 0x100, s33                                  // 000000003734: 801F21FF 00000100
	s_cmp_lt_u32 s31, s34                                      // 00000000373C: BF0A221F
	s_cselect_b32 s40, s40, 0                                  // 000000003740: 85288028
	buffer_load_dwordx4 a[56:59], v23, s[8:11], 0 offen        // 000000003744: E05C1000 80823817
	v_mfma_f32_16x16x16_bf16 v[32:35], a[70:71], a[38:39], v[32:35]// 00000000374C: D3E10020 1C824D46
	buffer_load_dwordx4 a[60:63], v24, s[8:11], 0 offen        // 000000003754: E05C1000 80823C18
	s_add_u32 s4, s40, s4                                      // 00000000375C: 80040428
	s_addc_u32 s5, 0, s5                                       // 000000003760: 82050580
	v_mfma_f32_16x16x16_bf16 v[36:39], a[64:65], a[40:41], v[36:39]// 000000003764: D3E10024 1C925140
	s_add_u32 s31, 0xc0, s33                                   // 00000000376C: 801F21FF 000000C0
	s_cmp_lt_u32 s31, s34                                      // 000000003774: BF0A221F
	s_cselect_b32 s41, s41, 0                                  // 000000003778: 85298029
	v_mfma_f32_16x16x16_bf16 v[36:39], a[66:67], a[42:43], v[36:39]// 00000000377C: D3E10024 1C925542
	s_add_u32 s8, s41, s8                                      // 000000003784: 80080829
	s_addc_u32 s9, 0, s9                                       // 000000003788: 82090980
	v_mfma_f32_16x16x16_bf16 v[36:39], a[68:69], a[44:45], v[36:39]// 00000000378C: D3E10024 1C925944
	v_mfma_f32_16x16x16_bf16 v[36:39], a[70:71], a[46:47], v[36:39]// 000000003794: D3E10024 1C925D46
	s_addk_i32 s33, 0x40                                       // 00000000379C: B7210040
	s_cmp_lt_i32 s33, s34                                      // 0000000037A0: BF042221
	s_cbranch_scc0 label_058C                                  // 0000000037A4: BF8401E2
	s_branch label_01CA                                        // 0000000037A8: BF82FE1F

00000000000037ac <label_03AB>:
	s_waitcnt vmcnt(8) lgkmcnt(0)                              // 0000000037AC: BF8C0078
	s_barrier                                                  // 0000000037B0: BF8A0000
	v_mfma_f32_16x16x16_bf16 v[28:31], a[48:49], a[0:1], v[28:31]// 0000000037B4: D3E1001C 1C720130
	s_add_u32 m0, 0, s42                                       // 0000000037BC: 807C2A80
	buffer_load_dword v16, s[4:7], 0 offen lds                 // 0000000037C0: E0511000 80010010
	ds_read_b128 a[24:27], v22 offset:6272                     // 0000000037C8: DBFE1880 18000016
	ds_read_b128 a[28:31], v22 offset:6336                     // 0000000037D0: DBFE18C0 1C000016
	v_mfma_f32_16x16x16_bf16 v[28:31], a[50:51], a[2:3], v[28:31]// 0000000037D8: D3E1001C 1C720532
	s_add_u32 m0, 0x100, s42                                   // 0000000037E0: 807C2AFF 00000100
	buffer_load_dword v17, s[4:7], 0 offen lds                 // 0000000037E8: E0511000 80010011
	v_mfma_f32_16x16x16_bf16 v[28:31], a[52:53], a[4:5], v[28:31]// 0000000037F0: D3E1001C 1C720934
	s_add_u32 m0, 0x200, s42                                   // 0000000037F8: 807C2AFF 00000200
	buffer_load_dword v18, s[4:7], 0 offen lds                 // 000000003800: E0511000 80010012
	ds_read_b128 a[32:35], v22 offset:6784                     // 000000003808: DBFE1A80 20000016
	ds_read_b128 a[36:39], v22 offset:6848                     // 000000003810: DBFE1AC0 24000016
	v_mfma_f32_16x16x16_bf16 v[28:31], a[54:55], a[6:7], v[28:31]// 000000003818: D3E1001C 1C720D36
	s_add_u32 m0, 0x300, s42                                   // 000000003820: 807C2AFF 00000300
	buffer_load_dword v19, s[4:7], 0 offen lds                 // 000000003828: E0511000 80010013
	v_mfma_f32_16x16x16_bf16 v[32:35], a[48:49], a[8:9], v[32:35]// 000000003830: D3E10020 1C821130
	s_add_u32 m0, 0x400, s42                                   // 000000003838: 807C2AFF 00000400
	buffer_load_dword v20, s[4:7], 0 offen lds                 // 000000003840: E0511000 80010014
	ds_read_b128 a[40:43], v22 offset:7296                     // 000000003848: DBFE1C80 28000016
	ds_read_b128 a[44:47], v22 offset:7360                     // 000000003850: DBFE1CC0 2C000016
	v_mfma_f32_16x16x16_bf16 v[32:35], a[50:51], a[10:11], v[32:35]// 000000003858: D3E10020 1C821532
	s_add_u32 m0, 0x500, s42                                   // 000000003860: 807C2AFF 00000500
	buffer_load_dword v21, s[4:7], 0 offen lds                 // 000000003868: E0511000 80010015
	v_mfma_f32_16x16x16_bf16 v[32:35], a[52:53], a[12:13], v[32:35]// 000000003870: D3E10020 1C821934
	s_add_u32 s31, 0x100, s33                                  // 000000003878: 801F21FF 00000100
	s_cmp_lt_u32 s31, s34                                      // 000000003880: BF0A221F
	s_cselect_b32 s40, s40, 0                                  // 000000003884: 85288028
	buffer_load_dwordx4 a[64:67], v23, s[8:11], 0 offen        // 000000003888: E05C1000 80824017
	s_add_u32 s4, s40, s4                                      // 000000003890: 80040428
	s_addc_u32 s5, 0, s5                                       // 000000003894: 82050580
	v_mfma_f32_16x16x16_bf16 v[32:35], a[54:55], a[14:15], v[32:35]// 000000003898: D3E10020 1C821D36
	buffer_load_dwordx4 a[68:71], v24, s[8:11], 0 offen        // 0000000038A0: E05C1000 80824418
	v_mfma_f32_16x16x16_bf16 v[36:39], a[48:49], a[16:17], v[36:39]// 0000000038A8: D3E10024 1C922130
	s_add_u32 s31, 0xc0, s33                                   // 0000000038B0: 801F21FF 000000C0
	s_cmp_lt_u32 s31, s34                                      // 0000000038B8: BF0A221F
	s_cselect_b32 s41, s41, 0                                  // 0000000038BC: 85298029
	s_add_u32 s8, s41, s8                                      // 0000000038C0: 80080829
	s_addc_u32 s9, 0, s9                                       // 0000000038C4: 82090980
	v_mfma_f32_16x16x16_bf16 v[36:39], a[50:51], a[18:19], v[36:39]// 0000000038C8: D3E10024 1C922532
	v_mfma_f32_16x16x16_bf16 v[36:39], a[52:53], a[20:21], v[36:39]// 0000000038D0: D3E10024 1C922934
	v_mfma_f32_16x16x16_bf16 v[36:39], a[54:55], a[22:23], v[36:39]// 0000000038D8: D3E10024 1C922D36
	s_addk_i32 s33, 0x40                                       // 0000000038E0: B7210040
	s_cmp_lt_i32 s33, s34                                      // 0000000038E4: BF042221
	s_cbranch_scc0 label_058C                                  // 0000000038E8: BF840191
	s_waitcnt vmcnt(8) lgkmcnt(0)                              // 0000000038EC: BF8C0078
	s_barrier                                                  // 0000000038F0: BF8A0000
	v_mfma_f32_16x16x16_bf16 v[28:31], a[56:57], a[24:25], v[28:31]// 0000000038F4: D3E1001C 1C723138
	s_add_u32 m0, 0, s43                                       // 0000000038FC: 807C2B80
	buffer_load_dword v16, s[4:7], 0 offen lds                 // 000000003900: E0511000 80010010
	ds_read_b128 a[0:3], v22 offset:12544                      // 000000003908: DBFE3100 00000016
	ds_read_b128 a[4:7], v22 offset:12608                      // 000000003910: DBFE3140 04000016
	v_mfma_f32_16x16x16_bf16 v[28:31], a[58:59], a[26:27], v[28:31]// 000000003918: D3E1001C 1C72353A
	s_add_u32 m0, 0x100, s43                                   // 000000003920: 807C2BFF 00000100
	buffer_load_dword v17, s[4:7], 0 offen lds                 // 000000003928: E0511000 80010011
	v_mfma_f32_16x16x16_bf16 v[28:31], a[60:61], a[28:29], v[28:31]// 000000003930: D3E1001C 1C72393C
	s_add_u32 m0, 0x200, s43                                   // 000000003938: 807C2BFF 00000200
	buffer_load_dword v18, s[4:7], 0 offen lds                 // 000000003940: E0511000 80010012
	ds_read_b128 a[8:11], v22 offset:13056                     // 000000003948: DBFE3300 08000016
	ds_read_b128 a[12:15], v22 offset:13120                    // 000000003950: DBFE3340 0C000016
	v_mfma_f32_16x16x16_bf16 v[28:31], a[62:63], a[30:31], v[28:31]// 000000003958: D3E1001C 1C723D3E
	s_add_u32 m0, 0x300, s43                                   // 000000003960: 807C2BFF 00000300
	buffer_load_dword v19, s[4:7], 0 offen lds                 // 000000003968: E0511000 80010013
	v_mfma_f32_16x16x16_bf16 v[32:35], a[56:57], a[32:33], v[32:35]// 000000003970: D3E10020 1C824138
	s_add_u32 m0, 0x400, s43                                   // 000000003978: 807C2BFF 00000400
	buffer_load_dword v20, s[4:7], 0 offen lds                 // 000000003980: E0511000 80010014
	ds_read_b128 a[16:19], v22 offset:13568                    // 000000003988: DBFE3500 10000016
	ds_read_b128 a[20:23], v22 offset:13632                    // 000000003990: DBFE3540 14000016
	v_mfma_f32_16x16x16_bf16 v[32:35], a[58:59], a[34:35], v[32:35]// 000000003998: D3E10020 1C82453A
	s_add_u32 m0, 0x500, s43                                   // 0000000039A0: 807C2BFF 00000500
	buffer_load_dword v21, s[4:7], 0 offen lds                 // 0000000039A8: E0511000 80010015
	v_mfma_f32_16x16x16_bf16 v[32:35], a[60:61], a[36:37], v[32:35]// 0000000039B0: D3E10020 1C82493C
	s_add_u32 s31, 0x100, s33                                  // 0000000039B8: 801F21FF 00000100
	s_cmp_lt_u32 s31, s34                                      // 0000000039C0: BF0A221F
	s_cselect_b32 s40, s40, 0                                  // 0000000039C4: 85288028
	buffer_load_dwordx4 a[48:51], v23, s[8:11], 0 offen        // 0000000039C8: E05C1000 80823017
	s_add_u32 s4, s40, s4                                      // 0000000039D0: 80040428
	s_addc_u32 s5, 0, s5                                       // 0000000039D4: 82050580
	v_mfma_f32_16x16x16_bf16 v[32:35], a[62:63], a[38:39], v[32:35]// 0000000039D8: D3E10020 1C824D3E
	buffer_load_dwordx4 a[52:55], v24, s[8:11], 0 offen        // 0000000039E0: E05C1000 80823418
	v_mfma_f32_16x16x16_bf16 v[36:39], a[56:57], a[40:41], v[36:39]// 0000000039E8: D3E10024 1C925138
	s_add_u32 s31, 0xc0, s33                                   // 0000000039F0: 801F21FF 000000C0
	s_cmp_lt_u32 s31, s34                                      // 0000000039F8: BF0A221F
	s_cselect_b32 s41, s41, 0                                  // 0000000039FC: 85298029
	s_add_u32 s8, s41, s8                                      // 000000003A00: 80080829
	s_addc_u32 s9, 0, s9                                       // 000000003A04: 82090980
	v_mfma_f32_16x16x16_bf16 v[36:39], a[58:59], a[42:43], v[36:39]// 000000003A08: D3E10024 1C92553A
	v_mfma_f32_16x16x16_bf16 v[36:39], a[60:61], a[44:45], v[36:39]// 000000003A10: D3E10024 1C92593C
	v_mfma_f32_16x16x16_bf16 v[36:39], a[62:63], a[46:47], v[36:39]// 000000003A18: D3E10024 1C925D3E
	s_addk_i32 s33, 0x40                                       // 000000003A20: B7210040
	s_cmp_lt_i32 s33, s34                                      // 000000003A24: BF042221
	s_cbranch_scc0 label_058C                                  // 000000003A28: BF840141
	s_waitcnt vmcnt(8) lgkmcnt(0)                              // 000000003A2C: BF8C0078
	s_barrier                                                  // 000000003A30: BF8A0000
	v_mfma_f32_16x16x16_bf16 v[28:31], a[64:65], a[0:1], v[28:31]// 000000003A34: D3E1001C 1C720140
	s_add_u32 m0, 0, s44                                       // 000000003A3C: 807C2C80
	buffer_load_dword v16, s[4:7], 0 offen lds                 // 000000003A40: E0511000 80010010
	ds_read_b128 a[24:27], v22                                 // 000000003A48: DBFE0000 18000016
	ds_read_b128 a[28:31], v22 offset:64                       // 000000003A50: DBFE0040 1C000016
	v_mfma_f32_16x16x16_bf16 v[28:31], a[66:67], a[2:3], v[28:31]// 000000003A58: D3E1001C 1C720542
	s_add_u32 m0, 0x100, s44                                   // 000000003A60: 807C2CFF 00000100
	buffer_load_dword v17, s[4:7], 0 offen lds                 // 000000003A68: E0511000 80010011
	v_mfma_f32_16x16x16_bf16 v[28:31], a[68:69], a[4:5], v[28:31]// 000000003A70: D3E1001C 1C720944
	s_add_u32 m0, 0x200, s44                                   // 000000003A78: 807C2CFF 00000200
	buffer_load_dword v18, s[4:7], 0 offen lds                 // 000000003A80: E0511000 80010012
	ds_read_b128 a[32:35], v22 offset:512                      // 000000003A88: DBFE0200 20000016
	ds_read_b128 a[36:39], v22 offset:576                      // 000000003A90: DBFE0240 24000016
	v_mfma_f32_16x16x16_bf16 v[28:31], a[70:71], a[6:7], v[28:31]// 000000003A98: D3E1001C 1C720D46
	s_add_u32 m0, 0x300, s44                                   // 000000003AA0: 807C2CFF 00000300
	buffer_load_dword v19, s[4:7], 0 offen lds                 // 000000003AA8: E0511000 80010013
	v_mfma_f32_16x16x16_bf16 v[32:35], a[64:65], a[8:9], v[32:35]// 000000003AB0: D3E10020 1C821140
	s_add_u32 m0, 0x400, s44                                   // 000000003AB8: 807C2CFF 00000400
	buffer_load_dword v20, s[4:7], 0 offen lds                 // 000000003AC0: E0511000 80010014
	ds_read_b128 a[40:43], v22 offset:1024                     // 000000003AC8: DBFE0400 28000016
	ds_read_b128 a[44:47], v22 offset:1088                     // 000000003AD0: DBFE0440 2C000016
	v_mfma_f32_16x16x16_bf16 v[32:35], a[66:67], a[10:11], v[32:35]// 000000003AD8: D3E10020 1C821542
	s_add_u32 m0, 0x500, s44                                   // 000000003AE0: 807C2CFF 00000500
	buffer_load_dword v21, s[4:7], 0 offen lds                 // 000000003AE8: E0511000 80010015
	v_mfma_f32_16x16x16_bf16 v[32:35], a[68:69], a[12:13], v[32:35]// 000000003AF0: D3E10020 1C821944
	s_add_u32 s31, 0x100, s33                                  // 000000003AF8: 801F21FF 00000100
	s_cmp_lt_u32 s31, s34                                      // 000000003B00: BF0A221F
	s_cselect_b32 s40, s40, 0                                  // 000000003B04: 85288028
	buffer_load_dwordx4 a[56:59], v23, s[8:11], 0 offen        // 000000003B08: E05C1000 80823817
	s_add_u32 s4, s40, s4                                      // 000000003B10: 80040428
	s_addc_u32 s5, 0, s5                                       // 000000003B14: 82050580
	v_mfma_f32_16x16x16_bf16 v[32:35], a[70:71], a[14:15], v[32:35]// 000000003B18: D3E10020 1C821D46
	buffer_load_dwordx4 a[60:63], v24, s[8:11], 0 offen        // 000000003B20: E05C1000 80823C18
	v_mfma_f32_16x16x16_bf16 v[36:39], a[64:65], a[16:17], v[36:39]// 000000003B28: D3E10024 1C922140
	s_add_u32 s31, 0xc0, s33                                   // 000000003B30: 801F21FF 000000C0
	s_cmp_lt_u32 s31, s34                                      // 000000003B38: BF0A221F
	s_cselect_b32 s41, s41, 0                                  // 000000003B3C: 85298029
	s_add_u32 s8, s41, s8                                      // 000000003B40: 80080829
	s_addc_u32 s9, 0, s9                                       // 000000003B44: 82090980
	v_mfma_f32_16x16x16_bf16 v[36:39], a[66:67], a[18:19], v[36:39]// 000000003B48: D3E10024 1C922542
	v_mfma_f32_16x16x16_bf16 v[36:39], a[68:69], a[20:21], v[36:39]// 000000003B50: D3E10024 1C922944
	v_mfma_f32_16x16x16_bf16 v[36:39], a[70:71], a[22:23], v[36:39]// 000000003B58: D3E10024 1C922D46
	s_addk_i32 s33, 0x40                                       // 000000003B60: B7210040
	s_cmp_lt_i32 s33, s34                                      // 000000003B64: BF042221
	s_cbranch_scc0 label_058C                                  // 000000003B68: BF8400F1
	s_waitcnt vmcnt(8) lgkmcnt(0)                              // 000000003B6C: BF8C0078
	s_barrier                                                  // 000000003B70: BF8A0000
	v_mfma_f32_16x16x16_bf16 v[28:31], a[48:49], a[24:25], v[28:31]// 000000003B74: D3E1001C 1C723130
	s_add_u32 m0, 0, s42                                       // 000000003B7C: 807C2A80
	buffer_load_dword v16, s[4:7], 0 offen lds                 // 000000003B80: E0511000 80010010
	ds_read_b128 a[0:3], v22 offset:6272                       // 000000003B88: DBFE1880 00000016
	ds_read_b128 a[4:7], v22 offset:6336                       // 000000003B90: DBFE18C0 04000016
	v_mfma_f32_16x16x16_bf16 v[28:31], a[50:51], a[26:27], v[28:31]// 000000003B98: D3E1001C 1C723532
	s_add_u32 m0, 0x100, s42                                   // 000000003BA0: 807C2AFF 00000100
	buffer_load_dword v17, s[4:7], 0 offen lds                 // 000000003BA8: E0511000 80010011
	v_mfma_f32_16x16x16_bf16 v[28:31], a[52:53], a[28:29], v[28:31]// 000000003BB0: D3E1001C 1C723934
	s_add_u32 m0, 0x200, s42                                   // 000000003BB8: 807C2AFF 00000200
	buffer_load_dword v18, s[4:7], 0 offen lds                 // 000000003BC0: E0511000 80010012
	ds_read_b128 a[8:11], v22 offset:6784                      // 000000003BC8: DBFE1A80 08000016
	ds_read_b128 a[12:15], v22 offset:6848                     // 000000003BD0: DBFE1AC0 0C000016
	v_mfma_f32_16x16x16_bf16 v[28:31], a[54:55], a[30:31], v[28:31]// 000000003BD8: D3E1001C 1C723D36
	s_add_u32 m0, 0x300, s42                                   // 000000003BE0: 807C2AFF 00000300
	buffer_load_dword v19, s[4:7], 0 offen lds                 // 000000003BE8: E0511000 80010013
	v_mfma_f32_16x16x16_bf16 v[32:35], a[48:49], a[32:33], v[32:35]// 000000003BF0: D3E10020 1C824130
	s_add_u32 m0, 0x400, s42                                   // 000000003BF8: 807C2AFF 00000400
	buffer_load_dword v20, s[4:7], 0 offen lds                 // 000000003C00: E0511000 80010014
	ds_read_b128 a[16:19], v22 offset:7296                     // 000000003C08: DBFE1C80 10000016
	ds_read_b128 a[20:23], v22 offset:7360                     // 000000003C10: DBFE1CC0 14000016
	v_mfma_f32_16x16x16_bf16 v[32:35], a[50:51], a[34:35], v[32:35]// 000000003C18: D3E10020 1C824532
	s_add_u32 m0, 0x500, s42                                   // 000000003C20: 807C2AFF 00000500
	buffer_load_dword v21, s[4:7], 0 offen lds                 // 000000003C28: E0511000 80010015
	v_mfma_f32_16x16x16_bf16 v[32:35], a[52:53], a[36:37], v[32:35]// 000000003C30: D3E10020 1C824934
	s_add_u32 s31, 0x100, s33                                  // 000000003C38: 801F21FF 00000100
	s_cmp_lt_u32 s31, s34                                      // 000000003C40: BF0A221F
	s_cselect_b32 s40, s40, 0                                  // 000000003C44: 85288028
	buffer_load_dwordx4 a[64:67], v23, s[8:11], 0 offen        // 000000003C48: E05C1000 80824017
	s_add_u32 s4, s40, s4                                      // 000000003C50: 80040428
	s_addc_u32 s5, 0, s5                                       // 000000003C54: 82050580
	v_mfma_f32_16x16x16_bf16 v[32:35], a[54:55], a[38:39], v[32:35]// 000000003C58: D3E10020 1C824D36
	buffer_load_dwordx4 a[68:71], v24, s[8:11], 0 offen        // 000000003C60: E05C1000 80824418
	v_mfma_f32_16x16x16_bf16 v[36:39], a[48:49], a[40:41], v[36:39]// 000000003C68: D3E10024 1C925130
	s_add_u32 s31, 0xc0, s33                                   // 000000003C70: 801F21FF 000000C0
	s_cmp_lt_u32 s31, s34                                      // 000000003C78: BF0A221F
	s_cselect_b32 s41, s41, 0                                  // 000000003C7C: 85298029
	s_add_u32 s8, s41, s8                                      // 000000003C80: 80080829
	s_addc_u32 s9, 0, s9                                       // 000000003C84: 82090980
	v_mfma_f32_16x16x16_bf16 v[36:39], a[50:51], a[42:43], v[36:39]// 000000003C88: D3E10024 1C925532
	v_mfma_f32_16x16x16_bf16 v[36:39], a[52:53], a[44:45], v[36:39]// 000000003C90: D3E10024 1C925934
	v_mfma_f32_16x16x16_bf16 v[36:39], a[54:55], a[46:47], v[36:39]// 000000003C98: D3E10024 1C925D36
	s_addk_i32 s33, 0x40                                       // 000000003CA0: B7210040
	s_cmp_lt_i32 s33, s34                                      // 000000003CA4: BF042221
	s_cbranch_scc0 label_058C                                  // 000000003CA8: BF8400A1
	s_waitcnt vmcnt(8) lgkmcnt(0)                              // 000000003CAC: BF8C0078
	s_barrier                                                  // 000000003CB0: BF8A0000
	v_mfma_f32_16x16x16_bf16 v[28:31], a[56:57], a[0:1], v[28:31]// 000000003CB4: D3E1001C 1C720138
	s_add_u32 m0, 0, s43                                       // 000000003CBC: 807C2B80
	buffer_load_dword v16, s[4:7], 0 offen lds                 // 000000003CC0: E0511000 80010010
	ds_read_b128 a[24:27], v22 offset:12544                    // 000000003CC8: DBFE3100 18000016
	ds_read_b128 a[28:31], v22 offset:12608                    // 000000003CD0: DBFE3140 1C000016
	v_mfma_f32_16x16x16_bf16 v[28:31], a[58:59], a[2:3], v[28:31]// 000000003CD8: D3E1001C 1C72053A
	s_add_u32 m0, 0x100, s43                                   // 000000003CE0: 807C2BFF 00000100
	buffer_load_dword v17, s[4:7], 0 offen lds                 // 000000003CE8: E0511000 80010011
	v_mfma_f32_16x16x16_bf16 v[28:31], a[60:61], a[4:5], v[28:31]// 000000003CF0: D3E1001C 1C72093C
	s_add_u32 m0, 0x200, s43                                   // 000000003CF8: 807C2BFF 00000200
	buffer_load_dword v18, s[4:7], 0 offen lds                 // 000000003D00: E0511000 80010012
	ds_read_b128 a[32:35], v22 offset:13056                    // 000000003D08: DBFE3300 20000016
	ds_read_b128 a[36:39], v22 offset:13120                    // 000000003D10: DBFE3340 24000016
	v_mfma_f32_16x16x16_bf16 v[28:31], a[62:63], a[6:7], v[28:31]// 000000003D18: D3E1001C 1C720D3E
	s_add_u32 m0, 0x300, s43                                   // 000000003D20: 807C2BFF 00000300
	buffer_load_dword v19, s[4:7], 0 offen lds                 // 000000003D28: E0511000 80010013
	v_mfma_f32_16x16x16_bf16 v[32:35], a[56:57], a[8:9], v[32:35]// 000000003D30: D3E10020 1C821138
	s_add_u32 m0, 0x400, s43                                   // 000000003D38: 807C2BFF 00000400
	buffer_load_dword v20, s[4:7], 0 offen lds                 // 000000003D40: E0511000 80010014
	ds_read_b128 a[40:43], v22 offset:13568                    // 000000003D48: DBFE3500 28000016
	ds_read_b128 a[44:47], v22 offset:13632                    // 000000003D50: DBFE3540 2C000016
	v_mfma_f32_16x16x16_bf16 v[32:35], a[58:59], a[10:11], v[32:35]// 000000003D58: D3E10020 1C82153A
	s_add_u32 m0, 0x500, s43                                   // 000000003D60: 807C2BFF 00000500
	buffer_load_dword v21, s[4:7], 0 offen lds                 // 000000003D68: E0511000 80010015
	v_mfma_f32_16x16x16_bf16 v[32:35], a[60:61], a[12:13], v[32:35]// 000000003D70: D3E10020 1C82193C
	s_add_u32 s31, 0x100, s33                                  // 000000003D78: 801F21FF 00000100
	s_cmp_lt_u32 s31, s34                                      // 000000003D80: BF0A221F
	s_cselect_b32 s40, s40, 0                                  // 000000003D84: 85288028
	buffer_load_dwordx4 a[48:51], v23, s[8:11], 0 offen        // 000000003D88: E05C1000 80823017
	s_add_u32 s4, s40, s4                                      // 000000003D90: 80040428
	s_addc_u32 s5, 0, s5                                       // 000000003D94: 82050580
	v_mfma_f32_16x16x16_bf16 v[32:35], a[62:63], a[14:15], v[32:35]// 000000003D98: D3E10020 1C821D3E
	buffer_load_dwordx4 a[52:55], v24, s[8:11], 0 offen        // 000000003DA0: E05C1000 80823418
	v_mfma_f32_16x16x16_bf16 v[36:39], a[56:57], a[16:17], v[36:39]// 000000003DA8: D3E10024 1C922138
	s_add_u32 s31, 0xc0, s33                                   // 000000003DB0: 801F21FF 000000C0
	s_cmp_lt_u32 s31, s34                                      // 000000003DB8: BF0A221F
	s_cselect_b32 s41, s41, 0                                  // 000000003DBC: 85298029
	s_add_u32 s8, s41, s8                                      // 000000003DC0: 80080829
	s_addc_u32 s9, 0, s9                                       // 000000003DC4: 82090980
	v_mfma_f32_16x16x16_bf16 v[36:39], a[58:59], a[18:19], v[36:39]// 000000003DC8: D3E10024 1C92253A
	v_mfma_f32_16x16x16_bf16 v[36:39], a[60:61], a[20:21], v[36:39]// 000000003DD0: D3E10024 1C92293C
	v_mfma_f32_16x16x16_bf16 v[36:39], a[62:63], a[22:23], v[36:39]// 000000003DD8: D3E10024 1C922D3E
	s_addk_i32 s33, 0x40                                       // 000000003DE0: B7210040
	s_cmp_lt_i32 s33, s34                                      // 000000003DE4: BF042221
	s_cbranch_scc0 label_058C                                  // 000000003DE8: BF840051
	s_waitcnt vmcnt(8) lgkmcnt(0)                              // 000000003DEC: BF8C0078
	s_barrier                                                  // 000000003DF0: BF8A0000
	v_mfma_f32_16x16x16_bf16 v[28:31], a[64:65], a[24:25], v[28:31]// 000000003DF4: D3E1001C 1C723140
	s_add_u32 m0, 0, s44                                       // 000000003DFC: 807C2C80
	buffer_load_dword v16, s[4:7], 0 offen lds                 // 000000003E00: E0511000 80010010
	ds_read_b128 a[0:3], v22                                   // 000000003E08: DBFE0000 00000016
	ds_read_b128 a[4:7], v22 offset:64                         // 000000003E10: DBFE0040 04000016
	v_mfma_f32_16x16x16_bf16 v[28:31], a[66:67], a[26:27], v[28:31]// 000000003E18: D3E1001C 1C723542
	s_add_u32 m0, 0x100, s44                                   // 000000003E20: 807C2CFF 00000100
	buffer_load_dword v17, s[4:7], 0 offen lds                 // 000000003E28: E0511000 80010011
	v_mfma_f32_16x16x16_bf16 v[28:31], a[68:69], a[28:29], v[28:31]// 000000003E30: D3E1001C 1C723944
	s_add_u32 m0, 0x200, s44                                   // 000000003E38: 807C2CFF 00000200
	buffer_load_dword v18, s[4:7], 0 offen lds                 // 000000003E40: E0511000 80010012
	ds_read_b128 a[8:11], v22 offset:512                       // 000000003E48: DBFE0200 08000016
	ds_read_b128 a[12:15], v22 offset:576                      // 000000003E50: DBFE0240 0C000016
	v_mfma_f32_16x16x16_bf16 v[28:31], a[70:71], a[30:31], v[28:31]// 000000003E58: D3E1001C 1C723D46
	s_add_u32 m0, 0x300, s44                                   // 000000003E60: 807C2CFF 00000300
	buffer_load_dword v19, s[4:7], 0 offen lds                 // 000000003E68: E0511000 80010013
	v_mfma_f32_16x16x16_bf16 v[32:35], a[64:65], a[32:33], v[32:35]// 000000003E70: D3E10020 1C824140
	s_add_u32 m0, 0x400, s44                                   // 000000003E78: 807C2CFF 00000400
	buffer_load_dword v20, s[4:7], 0 offen lds                 // 000000003E80: E0511000 80010014
	ds_read_b128 a[16:19], v22 offset:1024                     // 000000003E88: DBFE0400 10000016
	ds_read_b128 a[20:23], v22 offset:1088                     // 000000003E90: DBFE0440 14000016
	v_mfma_f32_16x16x16_bf16 v[32:35], a[66:67], a[34:35], v[32:35]// 000000003E98: D3E10020 1C824542
	s_add_u32 m0, 0x500, s44                                   // 000000003EA0: 807C2CFF 00000500
	buffer_load_dword v21, s[4:7], 0 offen lds                 // 000000003EA8: E0511000 80010015
	v_mfma_f32_16x16x16_bf16 v[32:35], a[68:69], a[36:37], v[32:35]// 000000003EB0: D3E10020 1C824944
	s_add_u32 s31, 0x100, s33                                  // 000000003EB8: 801F21FF 00000100
	s_cmp_lt_u32 s31, s34                                      // 000000003EC0: BF0A221F
	s_cselect_b32 s40, s40, 0                                  // 000000003EC4: 85288028
	buffer_load_dwordx4 a[56:59], v23, s[8:11], 0 offen        // 000000003EC8: E05C1000 80823817
	s_add_u32 s4, s40, s4                                      // 000000003ED0: 80040428
	s_addc_u32 s5, 0, s5                                       // 000000003ED4: 82050580
	v_mfma_f32_16x16x16_bf16 v[32:35], a[70:71], a[38:39], v[32:35]// 000000003ED8: D3E10020 1C824D46
	buffer_load_dwordx4 a[60:63], v24, s[8:11], 0 offen        // 000000003EE0: E05C1000 80823C18
	v_mfma_f32_16x16x16_bf16 v[36:39], a[64:65], a[40:41], v[36:39]// 000000003EE8: D3E10024 1C925140
	s_add_u32 s31, 0xc0, s33                                   // 000000003EF0: 801F21FF 000000C0
	s_cmp_lt_u32 s31, s34                                      // 000000003EF8: BF0A221F
	s_cselect_b32 s41, s41, 0                                  // 000000003EFC: 85298029
	s_add_u32 s8, s41, s8                                      // 000000003F00: 80080829
	s_addc_u32 s9, 0, s9                                       // 000000003F04: 82090980
	v_mfma_f32_16x16x16_bf16 v[36:39], a[66:67], a[42:43], v[36:39]// 000000003F08: D3E10024 1C925542
	v_mfma_f32_16x16x16_bf16 v[36:39], a[68:69], a[44:45], v[36:39]// 000000003F10: D3E10024 1C925944
	v_mfma_f32_16x16x16_bf16 v[36:39], a[70:71], a[46:47], v[36:39]// 000000003F18: D3E10024 1C925D46
	s_addk_i32 s33, 0x40                                       // 000000003F20: B7210040
	s_cmp_lt_i32 s33, s34                                      // 000000003F24: BF042221
	s_cbranch_scc0 label_058C                                  // 000000003F28: BF840001
	s_branch label_03AB                                        // 000000003F2C: BF82FE1F

0000000000003f30 <label_058C>:
	s_cmp_le_u32 s48, 1                                        // 000000003F30: BF0B8130
	s_cbranch_scc1 label_0839                                  // 000000003F34: BF8502AB
	s_mov_b32 s31, 48                                          // 000000003F38: BE9F00B0
	s_cmp_lt_u32 s51, s31                                      // 000000003F3C: BF0A1F33
	s_cbranch_scc1 label_069A                                  // 000000003F40: BF850109
	v_mov_b32_e32 v5, 0                                        // 000000003F44: 7E0A0280
	s_and_b32 s17, s17, 0xffff                                 // 000000003F48: 8611FF11 0000FFFF
	s_cmp_lt_u32 s50, 1                                        // 000000003F50: BF0A8132
	s_cbranch_scc0 label_05FF                                  // 000000003F54: BF840069
	v_lshrrev_b32_e32 v4, 4, v0                                // 000000003F58: 20080084
	v_mul_u32_u24_e32 v22, 0x44, v4                            // 000000003F5C: 102C08FF 00000044
	v_and_b32_e32 v4, 15, v0                                   // 000000003F64: 2608008F
	v_mul_lo_u32 v5, 4, v4                                     // 000000003F68: D2850005 00020884
	v_add_u32_e32 v22, v5, v22                                 // 000000003F70: 682C2D05
	s_mul_i32 s31, s24, 0x110                                  // 000000003F74: 921FFF18 00000110
	v_add_u32_e32 v22, s31, v22                                // 000000003F7C: 682C2C1F
	v_lshlrev_b32_e32 v22, 2, v22                              // 000000003F80: 242C2C82
	v_lshrrev_b32_e32 v4, 2, v0                                // 000000003F84: 20080082
	v_mul_u32_u24_e32 v25, 0x44, v4                            // 000000003F88: 103208FF 00000044
	v_and_b32_e32 v4, 3, v0                                    // 000000003F90: 26080083
	v_add_u32_e32 v25, v4, v25                                 // 000000003F94: 68323304
	s_mul_i32 s31, s24, 4                                      // 000000003F98: 921F8418
	v_add_u32_e32 v25, s31, v25                                // 000000003F9C: 6832321F
	v_lshlrev_b32_e32 v25, 2, v25                              // 000000003FA0: 24323282
	s_waitcnt vmcnt(0) expcnt(0) lgkmcnt(0)                    // 000000003FA4: BF8C0000
	s_barrier                                                  // 000000003FA8: BF8A0000
	ds_write_b128 v22, v[28:31]                                // 000000003FAC: D9BE0000 00001C16
	ds_write_b128 v22, v[32:35] offset:4352                    // 000000003FB4: D9BE1100 00002016
	ds_write_b128 v22, v[36:39] offset:8704                    // 000000003FBC: D9BE2200 00002416
	s_waitcnt lgkmcnt(0)                                       // 000000003FC4: BF8CC07F
	s_barrier                                                  // 000000003FC8: BF8A0000
	ds_read_b32 v28, v25                                       // 000000003FCC: D86C0000 1C000019
	ds_read_b32 v29, v25 offset:64                             // 000000003FD4: D86C0040 1D000019
	ds_read_b32 v30, v25 offset:128                            // 000000003FDC: D86C0080 1E000019
	ds_read_b32 v31, v25 offset:192                            // 000000003FE4: D86C00C0 1F000019
	ds_read_b32 v32, v25 offset:4352                           // 000000003FEC: D86C1100 20000019
	ds_read_b32 v33, v25 offset:4416                           // 000000003FF4: D86C1140 21000019
	ds_read_b32 v34, v25 offset:4480                           // 000000003FFC: D86C1180 22000019
	ds_read_b32 v35, v25 offset:4544                           // 000000004004: D86C11C0 23000019
	ds_read_b32 v36, v25 offset:8704                           // 00000000400C: D86C2200 24000019
	ds_read_b32 v37, v25 offset:8768                           // 000000004014: D86C2240 25000019
	ds_read_b32 v38, v25 offset:8832                           // 00000000401C: D86C2280 26000019
	ds_read_b32 v39, v25 offset:8896                           // 000000004024: D86C22C0 27000019
	s_waitcnt lgkmcnt(0)                                       // 00000000402C: BF8CC07F
	s_mul_i32 s31, s30, 4                                      // 000000004030: 921F841E
	v_mov_b32_e32 v4, v15                                      // 000000004034: 7E08030F
	global_atomic_add_f32 v4, v28, s[16:17]                    // 000000004038: DD348000 00101C04
	v_add_u32_e64 v4, v4, s31                                  // 000000004040: D1340004 00003F04
	global_atomic_add_f32 v4, v29, s[16:17]                    // 000000004048: DD348000 00101D04
	v_add_u32_e64 v4, v4, s31                                  // 000000004050: D1340004 00003F04
	global_atomic_add_f32 v4, v30, s[16:17]                    // 000000004058: DD348000 00101E04
	v_add_u32_e64 v4, v4, s31                                  // 000000004060: D1340004 00003F04
	global_atomic_add_f32 v4, v31, s[16:17]                    // 000000004068: DD348000 00101F04
	v_add_u32_e64 v4, v4, s31                                  // 000000004070: D1340004 00003F04
	global_atomic_add_f32 v4, v32, s[16:17]                    // 000000004078: DD348000 00102004
	v_add_u32_e64 v4, v4, s31                                  // 000000004080: D1340004 00003F04
	global_atomic_add_f32 v4, v33, s[16:17]                    // 000000004088: DD348000 00102104
	;; [unrolled: 2-line block ×3, first 2 shown]
	v_add_u32_e64 v4, v4, s31                                  // 0000000040A0: D1340004 00003F04
	global_atomic_add_f32 v4, v35, s[16:17]                    // 0000000040A8: DD348000 00102304
	v_add_u32_e64 v4, v4, s31                                  // 0000000040B0: D1340004 00003F04
	global_atomic_add_f32 v4, v36, s[16:17]                    // 0000000040B8: DD348000 00102404
	v_add_u32_e64 v4, v4, s31                                  // 0000000040C0: D1340004 00003F04
	global_atomic_add_f32 v4, v37, s[16:17]                    // 0000000040C8: DD348000 00102504
	v_add_u32_e64 v4, v4, s31                                  // 0000000040D0: D1340004 00003F04
	global_atomic_add_f32 v4, v38, s[16:17]                    // 0000000040D8: DD348000 00102604
	v_add_u32_e64 v4, v4, s31                                  // 0000000040E0: D1340004 00003F04
	global_atomic_add_f32 v4, v39, s[16:17]                    // 0000000040E8: DD348000 00102704
	v_add_u32_e64 v4, v4, s31                                  // 0000000040F0: D1340004 00003F04
	s_branch label_089C                                        // 0000000040F8: BF82029D

00000000000040fc <label_05FF>:
	v_lshrrev_b32_e32 v4, 4, v0                                // 0000000040FC: 20080084
	v_mul_u32_u24_e32 v22, 34, v4                              // 000000004100: 102C08A2
	v_and_b32_e32 v4, 15, v0                                   // 000000004104: 2608008F
	v_mul_lo_u32 v5, 2, v4                                     // 000000004108: D2850005 00020882
	v_add_u32_e32 v22, v5, v22                                 // 000000004110: 682C2D05
	s_mul_i32 s31, s24, 0x88                                   // 000000004114: 921FFF18 00000088
	v_add_u32_e32 v22, s31, v22                                // 00000000411C: 682C2C1F
	v_lshlrev_b32_e32 v22, 2, v22                              // 000000004120: 242C2C82
	v_and_b32_e32 v4, 31, v0                                   // 000000004124: 2608009F
	v_lshrrev_b32_e32 v5, 1, v4                                // 000000004128: 200A0881
	v_mul_u32_u24_e32 v25, 34, v5                              // 00000000412C: 10320AA2
	v_and_b32_e32 v5, 1, v4                                    // 000000004130: 260A0881
	v_add_u32_e32 v25, v5, v25                                 // 000000004134: 68323305
	v_lshrrev_b32_e32 v4, 5, v0                                // 000000004138: 20080085
	v_mul_u32_u24_e32 v4, 8, v4                                // 00000000413C: 10080888
	v_add_u32_e32 v25, v4, v25                                 // 000000004140: 68323304
	s_mul_i32 s31, s24, 2                                      // 000000004144: 921F8218
	v_add_u32_e32 v25, s31, v25                                // 000000004148: 6832321F
	v_lshlrev_b32_e32 v25, 2, v25                              // 00000000414C: 24323282
	s_waitcnt vmcnt(0) expcnt(0) lgkmcnt(0)                    // 000000004150: BF8C0000
	s_barrier                                                  // 000000004154: BF8A0000
	v_cmp_u_f32_e64 s[56:57], v28, v28                         // 000000004158: D0480038 0002391C
	v_add3_u32 v8, v28, v11, 1                                 // 000000004160: D1FF0008 0206171C
	v_cndmask_b32_e64 v4, v8, v10, s[56:57]                    // 000000004168: D1000004 00E21508
	v_cmp_u_f32_e64 s[56:57], v29, v29                         // 000000004170: D0480038 00023B1D
	v_add3_u32 v8, v29, v11, 1                                 // 000000004178: D1FF0008 0206171D
	v_cndmask_b32_e64 v5, v8, v10, s[56:57]                    // 000000004180: D1000005 00E21508
	v_perm_b32 v40, v5, v4, s35                                // 000000004188: D1ED0028 008E0905
	v_cmp_u_f32_e64 s[56:57], v30, v30                         // 000000004190: D0480038 00023D1E
	v_add3_u32 v8, v30, v11, 1                                 // 000000004198: D1FF0008 0206171E
	v_cndmask_b32_e64 v4, v8, v10, s[56:57]                    // 0000000041A0: D1000004 00E21508
	v_cmp_u_f32_e64 s[56:57], v31, v31                         // 0000000041A8: D0480038 00023F1F
	v_add3_u32 v8, v31, v11, 1                                 // 0000000041B0: D1FF0008 0206171F
	v_cndmask_b32_e64 v5, v8, v10, s[56:57]                    // 0000000041B8: D1000005 00E21508
	v_perm_b32 v41, v5, v4, s35                                // 0000000041C0: D1ED0029 008E0905
	v_cmp_u_f32_e64 s[56:57], v32, v32                         // 0000000041C8: D0480038 00024120
	v_add3_u32 v8, v32, v11, 1                                 // 0000000041D0: D1FF0008 02061720
	v_cndmask_b32_e64 v4, v8, v10, s[56:57]                    // 0000000041D8: D1000004 00E21508
	v_cmp_u_f32_e64 s[56:57], v33, v33                         // 0000000041E0: D0480038 00024321
	v_add3_u32 v8, v33, v11, 1                                 // 0000000041E8: D1FF0008 02061721
	v_cndmask_b32_e64 v5, v8, v10, s[56:57]                    // 0000000041F0: D1000005 00E21508
	v_perm_b32 v42, v5, v4, s35                                // 0000000041F8: D1ED002A 008E0905
	v_cmp_u_f32_e64 s[56:57], v34, v34                         // 000000004200: D0480038 00024522
	v_add3_u32 v8, v34, v11, 1                                 // 000000004208: D1FF0008 02061722
	v_cndmask_b32_e64 v4, v8, v10, s[56:57]                    // 000000004210: D1000004 00E21508
	v_cmp_u_f32_e64 s[56:57], v35, v35                         // 000000004218: D0480038 00024723
	v_add3_u32 v8, v35, v11, 1                                 // 000000004220: D1FF0008 02061723
	v_cndmask_b32_e64 v5, v8, v10, s[56:57]                    // 000000004228: D1000005 00E21508
	v_perm_b32 v43, v5, v4, s35                                // 000000004230: D1ED002B 008E0905
	v_cmp_u_f32_e64 s[56:57], v36, v36                         // 000000004238: D0480038 00024924
	v_add3_u32 v8, v36, v11, 1                                 // 000000004240: D1FF0008 02061724
	v_cndmask_b32_e64 v4, v8, v10, s[56:57]                    // 000000004248: D1000004 00E21508
	v_cmp_u_f32_e64 s[56:57], v37, v37                         // 000000004250: D0480038 00024B25
	v_add3_u32 v8, v37, v11, 1                                 // 000000004258: D1FF0008 02061725
	v_cndmask_b32_e64 v5, v8, v10, s[56:57]                    // 000000004260: D1000005 00E21508
	v_perm_b32 v44, v5, v4, s35                                // 000000004268: D1ED002C 008E0905
	v_cmp_u_f32_e64 s[56:57], v38, v38                         // 000000004270: D0480038 00024D26
	v_add3_u32 v8, v38, v11, 1                                 // 000000004278: D1FF0008 02061726
	v_cndmask_b32_e64 v4, v8, v10, s[56:57]                    // 000000004280: D1000004 00E21508
	v_cmp_u_f32_e64 s[56:57], v39, v39                         // 000000004288: D0480038 00024F27
	v_add3_u32 v8, v39, v11, 1                                 // 000000004290: D1FF0008 02061727
	v_cndmask_b32_e64 v5, v8, v10, s[56:57]                    // 000000004298: D1000005 00E21508
	v_perm_b32 v45, v5, v4, s35                                // 0000000042A0: D1ED002D 008E0905
	ds_write_b64 v22, v[40:41]                                 // 0000000042A8: D89A0000 00002816
	ds_write_b64 v22, v[42:43] offset:2176                     // 0000000042B0: D89A0880 00002A16
	ds_write_b64 v22, v[44:45] offset:4352                     // 0000000042B8: D89A1100 00002C16
	s_waitcnt lgkmcnt(0)                                       // 0000000042C0: BF8CC07F
	s_barrier                                                  // 0000000042C4: BF8A0000
	ds_read_b32 v40, v25                                       // 0000000042C8: D86C0000 28000019
	ds_read_b32 v41, v25 offset:64                             // 0000000042D0: D86C0040 29000019
	ds_read_b32 v42, v25 offset:2176                           // 0000000042D8: D86C0880 2A000019
	ds_read_b32 v43, v25 offset:2240                           // 0000000042E0: D86C08C0 2B000019
	ds_read_b32 v44, v25 offset:4352                           // 0000000042E8: D86C1100 2C000019
	ds_read_b32 v45, v25 offset:4416                           // 0000000042F0: D86C1140 2D000019
	s_waitcnt lgkmcnt(0)                                       // 0000000042F8: BF8CC07F
	s_mul_i32 s31, s30, 8                                      // 0000000042FC: 921F881E
	v_mov_b32_e32 v4, v15                                      // 000000004300: 7E08030F
	global_atomic_pk_add_bf16 v4, v40, s[16:17]                // 000000004304: DD488000 00102804
	v_add_u32_e64 v4, v4, s31                                  // 00000000430C: D1340004 00003F04
	global_atomic_pk_add_bf16 v4, v41, s[16:17]                // 000000004314: DD488000 00102904
	v_add_u32_e64 v4, v4, s31                                  // 00000000431C: D1340004 00003F04
	global_atomic_pk_add_bf16 v4, v42, s[16:17]                // 000000004324: DD488000 00102A04
	v_add_u32_e64 v4, v4, s31                                  // 00000000432C: D1340004 00003F04
	global_atomic_pk_add_bf16 v4, v43, s[16:17]                // 000000004334: DD488000 00102B04
	v_add_u32_e64 v4, v4, s31                                  // 00000000433C: D1340004 00003F04
	global_atomic_pk_add_bf16 v4, v44, s[16:17]                // 000000004344: DD488000 00102C04
	v_add_u32_e64 v4, v4, s31                                  // 00000000434C: D1340004 00003F04
	global_atomic_pk_add_bf16 v4, v45, s[16:17]                // 000000004354: DD488000 00102D04
	v_add_u32_e64 v4, v4, s31                                  // 00000000435C: D1340004 00003F04
	s_branch label_089C                                        // 000000004364: BF820202

0000000000004368 <label_069A>:
	v_mov_b32_e32 v5, 0                                        // 000000004368: 7E0A0280
	s_and_b32 s17, s17, 0xffff                                 // 00000000436C: 8611FF11 0000FFFF
	s_cmp_lt_u32 s50, 1                                        // 000000004374: BF0A8132
	s_cbranch_scc0 label_0732                                  // 000000004378: BF840093
	v_lshrrev_b32_e32 v4, 4, v0                                // 00000000437C: 20080084
	v_mul_u32_u24_e32 v22, 0x44, v4                            // 000000004380: 102C08FF 00000044
	v_and_b32_e32 v4, 15, v0                                   // 000000004388: 2608008F
	v_mul_lo_u32 v5, 4, v4                                     // 00000000438C: D2850005 00020884
	v_add_u32_e32 v22, v5, v22                                 // 000000004394: 682C2D05
	s_mul_i32 s31, s24, 0x110                                  // 000000004398: 921FFF18 00000110
	v_add_u32_e32 v22, s31, v22                                // 0000000043A0: 682C2C1F
	v_lshlrev_b32_e32 v22, 2, v22                              // 0000000043A4: 242C2C82
	v_lshrrev_b32_e32 v4, 2, v0                                // 0000000043A8: 20080082
	v_mul_u32_u24_e32 v25, 0x44, v4                            // 0000000043AC: 103208FF 00000044
	v_and_b32_e32 v4, 3, v0                                    // 0000000043B4: 26080083
	v_add_u32_e32 v25, v4, v25                                 // 0000000043B8: 68323304
	s_mul_i32 s31, s24, 4                                      // 0000000043BC: 921F8418
	v_add_u32_e32 v25, s31, v25                                // 0000000043C0: 6832321F
	v_lshlrev_b32_e32 v25, 2, v25                              // 0000000043C4: 24323282
	s_lshr_b32 s31, s51, 2                                     // 0000000043C8: 8F1F8233
	s_and_b32 s32, s51, 3                                      // 0000000043CC: 86208333
	s_cmp_lt_u32 s24, s32                                      // 0000000043D0: BF0A2018
	s_cselect_b32 s32, 1, 0                                    // 0000000043D4: 85208081
	s_add_u32 s51, s31, s32                                    // 0000000043D8: 8033201F
	s_mov_b32 s33, 0                                           // 0000000043DC: BEA10080
	s_waitcnt vmcnt(0) expcnt(0) lgkmcnt(0)                    // 0000000043E0: BF8C0000
	s_barrier                                                  // 0000000043E4: BF8A0000
	ds_write_b128 v22, v[28:31]                                // 0000000043E8: D9BE0000 00001C16
	ds_write_b128 v22, v[32:35] offset:4352                    // 0000000043F0: D9BE1100 00002016
	ds_write_b128 v22, v[36:39] offset:8704                    // 0000000043F8: D9BE2200 00002416
	s_waitcnt lgkmcnt(0)                                       // 000000004400: BF8CC07F
	s_barrier                                                  // 000000004404: BF8A0000
	ds_read_b32 v28, v25                                       // 000000004408: D86C0000 1C000019
	ds_read_b32 v29, v25 offset:64                             // 000000004410: D86C0040 1D000019
	ds_read_b32 v30, v25 offset:128                            // 000000004418: D86C0080 1E000019
	ds_read_b32 v31, v25 offset:192                            // 000000004420: D86C00C0 1F000019
	ds_read_b32 v32, v25 offset:4352                           // 000000004428: D86C1100 20000019
	ds_read_b32 v33, v25 offset:4416                           // 000000004430: D86C1140 21000019
	ds_read_b32 v34, v25 offset:4480                           // 000000004438: D86C1180 22000019
	ds_read_b32 v35, v25 offset:4544                           // 000000004440: D86C11C0 23000019
	ds_read_b32 v36, v25 offset:8704                           // 000000004448: D86C2200 24000019
	ds_read_b32 v37, v25 offset:8768                           // 000000004450: D86C2240 25000019
	ds_read_b32 v38, v25 offset:8832                           // 000000004458: D86C2280 26000019
	ds_read_b32 v39, v25 offset:8896                           // 000000004460: D86C22C0 27000019
	s_waitcnt lgkmcnt(0)                                       // 000000004468: BF8CC07F
	s_mul_i32 s31, s30, 4                                      // 00000000446C: 921F841E
	v_mov_b32_e32 v4, v15                                      // 000000004470: 7E08030F
	s_cmp_lt_i32 s33, s51                                      // 000000004474: BF043321
	s_cbranch_scc0 label_089C                                  // 000000004478: BF8401BD
	global_atomic_add_f32 v4, v28, s[16:17]                    // 00000000447C: DD348000 00101C04
	v_add_u32_e64 v4, v4, s31                                  // 000000004484: D1340004 00003F04
	s_addk_i32 s33, 0x1                                        // 00000000448C: B7210001
	s_cmp_lt_i32 s33, s51                                      // 000000004490: BF043321
	s_cbranch_scc0 label_089C                                  // 000000004494: BF8401B6
	global_atomic_add_f32 v4, v29, s[16:17]                    // 000000004498: DD348000 00101D04
	v_add_u32_e64 v4, v4, s31                                  // 0000000044A0: D1340004 00003F04
	s_addk_i32 s33, 0x1                                        // 0000000044A8: B7210001
	s_cmp_lt_i32 s33, s51                                      // 0000000044AC: BF043321
	s_cbranch_scc0 label_089C                                  // 0000000044B0: BF8401AF
	global_atomic_add_f32 v4, v30, s[16:17]                    // 0000000044B4: DD348000 00101E04
	v_add_u32_e64 v4, v4, s31                                  // 0000000044BC: D1340004 00003F04
	s_addk_i32 s33, 0x1                                        // 0000000044C4: B7210001
	s_cmp_lt_i32 s33, s51                                      // 0000000044C8: BF043321
	s_cbranch_scc0 label_089C                                  // 0000000044CC: BF8401A8
	global_atomic_add_f32 v4, v31, s[16:17]                    // 0000000044D0: DD348000 00101F04
	v_add_u32_e64 v4, v4, s31                                  // 0000000044D8: D1340004 00003F04
	s_addk_i32 s33, 0x1                                        // 0000000044E0: B7210001
	s_cmp_lt_i32 s33, s51                                      // 0000000044E4: BF043321
	s_cbranch_scc0 label_089C                                  // 0000000044E8: BF8401A1
	global_atomic_add_f32 v4, v32, s[16:17]                    // 0000000044EC: DD348000 00102004
	v_add_u32_e64 v4, v4, s31                                  // 0000000044F4: D1340004 00003F04
	s_addk_i32 s33, 0x1                                        // 0000000044FC: B7210001
	s_cmp_lt_i32 s33, s51                                      // 000000004500: BF043321
	s_cbranch_scc0 label_089C                                  // 000000004504: BF84019A
	global_atomic_add_f32 v4, v33, s[16:17]                    // 000000004508: DD348000 00102104
	v_add_u32_e64 v4, v4, s31                                  // 000000004510: D1340004 00003F04
	s_addk_i32 s33, 0x1                                        // 000000004518: B7210001
	s_cmp_lt_i32 s33, s51                                      // 00000000451C: BF043321
	s_cbranch_scc0 label_089C                                  // 000000004520: BF840193
	global_atomic_add_f32 v4, v34, s[16:17]                    // 000000004524: DD348000 00102204
	v_add_u32_e64 v4, v4, s31                                  // 00000000452C: D1340004 00003F04
	s_addk_i32 s33, 0x1                                        // 000000004534: B7210001
	s_cmp_lt_i32 s33, s51                                      // 000000004538: BF043321
	s_cbranch_scc0 label_089C                                  // 00000000453C: BF84018C
	global_atomic_add_f32 v4, v35, s[16:17]                    // 000000004540: DD348000 00102304
	v_add_u32_e64 v4, v4, s31                                  // 000000004548: D1340004 00003F04
	s_addk_i32 s33, 0x1                                        // 000000004550: B7210001
	s_cmp_lt_i32 s33, s51                                      // 000000004554: BF043321
	s_cbranch_scc0 label_089C                                  // 000000004558: BF840185
	global_atomic_add_f32 v4, v36, s[16:17]                    // 00000000455C: DD348000 00102404
	v_add_u32_e64 v4, v4, s31                                  // 000000004564: D1340004 00003F04
	s_addk_i32 s33, 0x1                                        // 00000000456C: B7210001
	s_cmp_lt_i32 s33, s51                                      // 000000004570: BF043321
	s_cbranch_scc0 label_089C                                  // 000000004574: BF84017E
	global_atomic_add_f32 v4, v37, s[16:17]                    // 000000004578: DD348000 00102504
	v_add_u32_e64 v4, v4, s31                                  // 000000004580: D1340004 00003F04
	s_addk_i32 s33, 0x1                                        // 000000004588: B7210001
	s_cmp_lt_i32 s33, s51                                      // 00000000458C: BF043321
	s_cbranch_scc0 label_089C                                  // 000000004590: BF840177
	global_atomic_add_f32 v4, v38, s[16:17]                    // 000000004594: DD348000 00102604
	v_add_u32_e64 v4, v4, s31                                  // 00000000459C: D1340004 00003F04
	s_addk_i32 s33, 0x1                                        // 0000000045A4: B7210001
	s_cmp_lt_i32 s33, s51                                      // 0000000045A8: BF043321
	s_cbranch_scc0 label_089C                                  // 0000000045AC: BF840170
	global_atomic_add_f32 v4, v39, s[16:17]                    // 0000000045B0: DD348000 00102704
	v_add_u32_e64 v4, v4, s31                                  // 0000000045B8: D1340004 00003F04
	s_addk_i32 s33, 0x1                                        // 0000000045C0: B7210001
	s_branch label_089C                                        // 0000000045C4: BF82016A

00000000000045c8 <label_0732>:
	v_lshrrev_b32_e32 v4, 4, v0                                // 0000000045C8: 20080084
	v_mul_u32_u24_e32 v22, 34, v4                              // 0000000045CC: 102C08A2
	v_and_b32_e32 v4, 15, v0                                   // 0000000045D0: 2608008F
	v_mul_lo_u32 v5, 2, v4                                     // 0000000045D4: D2850005 00020882
	v_add_u32_e32 v22, v5, v22                                 // 0000000045DC: 682C2D05
	s_mul_i32 s31, s24, 0x88                                   // 0000000045E0: 921FFF18 00000088
	v_add_u32_e32 v22, s31, v22                                // 0000000045E8: 682C2C1F
	v_lshlrev_b32_e32 v22, 2, v22                              // 0000000045EC: 242C2C82
	v_and_b32_e32 v4, 31, v0                                   // 0000000045F0: 2608009F
	v_lshrrev_b32_e32 v5, 1, v4                                // 0000000045F4: 200A0881
	v_mul_u32_u24_e32 v25, 34, v5                              // 0000000045F8: 10320AA2
	v_and_b32_e32 v5, 1, v4                                    // 0000000045FC: 260A0881
	v_add_u32_e32 v25, v5, v25                                 // 000000004600: 68323305
	v_lshrrev_b32_e32 v4, 5, v0                                // 000000004604: 20080085
	v_mul_u32_u24_e32 v4, 8, v4                                // 000000004608: 10080888
	v_add_u32_e32 v25, v4, v25                                 // 00000000460C: 68323304
	s_mul_i32 s31, s24, 2                                      // 000000004610: 921F8218
	v_add_u32_e32 v25, s31, v25                                // 000000004614: 6832321F
	v_lshlrev_b32_e32 v25, 2, v25                              // 000000004618: 24323282
	s_lshr_b32 s31, s51, 2                                     // 00000000461C: 8F1F8233
	s_and_b32 s32, s51, 3                                      // 000000004620: 86208333
	s_cmp_lt_u32 s24, s32                                      // 000000004624: BF0A2018
	s_cselect_b32 s32, 1, 0                                    // 000000004628: 85208081
	s_add_u32 s51, s31, s32                                    // 00000000462C: 8033201F
	s_mov_b32 s33, 0                                           // 000000004630: BEA10080
	s_waitcnt vmcnt(0) expcnt(0) lgkmcnt(0)                    // 000000004634: BF8C0000
	s_barrier                                                  // 000000004638: BF8A0000
	v_cmp_u_f32_e64 s[56:57], v28, v28                         // 00000000463C: D0480038 0002391C
	v_add3_u32 v8, v28, v11, 1                                 // 000000004644: D1FF0008 0206171C
	v_cndmask_b32_e64 v4, v8, v10, s[56:57]                    // 00000000464C: D1000004 00E21508
	v_cmp_u_f32_e64 s[56:57], v29, v29                         // 000000004654: D0480038 00023B1D
	v_add3_u32 v8, v29, v11, 1                                 // 00000000465C: D1FF0008 0206171D
	v_cndmask_b32_e64 v5, v8, v10, s[56:57]                    // 000000004664: D1000005 00E21508
	v_perm_b32 v40, v5, v4, s35                                // 00000000466C: D1ED0028 008E0905
	v_cmp_u_f32_e64 s[56:57], v30, v30                         // 000000004674: D0480038 00023D1E
	v_add3_u32 v8, v30, v11, 1                                 // 00000000467C: D1FF0008 0206171E
	v_cndmask_b32_e64 v4, v8, v10, s[56:57]                    // 000000004684: D1000004 00E21508
	v_cmp_u_f32_e64 s[56:57], v31, v31                         // 00000000468C: D0480038 00023F1F
	v_add3_u32 v8, v31, v11, 1                                 // 000000004694: D1FF0008 0206171F
	v_cndmask_b32_e64 v5, v8, v10, s[56:57]                    // 00000000469C: D1000005 00E21508
	v_perm_b32 v41, v5, v4, s35                                // 0000000046A4: D1ED0029 008E0905
	v_cmp_u_f32_e64 s[56:57], v32, v32                         // 0000000046AC: D0480038 00024120
	v_add3_u32 v8, v32, v11, 1                                 // 0000000046B4: D1FF0008 02061720
	v_cndmask_b32_e64 v4, v8, v10, s[56:57]                    // 0000000046BC: D1000004 00E21508
	v_cmp_u_f32_e64 s[56:57], v33, v33                         // 0000000046C4: D0480038 00024321
	v_add3_u32 v8, v33, v11, 1                                 // 0000000046CC: D1FF0008 02061721
	v_cndmask_b32_e64 v5, v8, v10, s[56:57]                    // 0000000046D4: D1000005 00E21508
	v_perm_b32 v42, v5, v4, s35                                // 0000000046DC: D1ED002A 008E0905
	v_cmp_u_f32_e64 s[56:57], v34, v34                         // 0000000046E4: D0480038 00024522
	v_add3_u32 v8, v34, v11, 1                                 // 0000000046EC: D1FF0008 02061722
	v_cndmask_b32_e64 v4, v8, v10, s[56:57]                    // 0000000046F4: D1000004 00E21508
	v_cmp_u_f32_e64 s[56:57], v35, v35                         // 0000000046FC: D0480038 00024723
	v_add3_u32 v8, v35, v11, 1                                 // 000000004704: D1FF0008 02061723
	v_cndmask_b32_e64 v5, v8, v10, s[56:57]                    // 00000000470C: D1000005 00E21508
	v_perm_b32 v43, v5, v4, s35                                // 000000004714: D1ED002B 008E0905
	v_cmp_u_f32_e64 s[56:57], v36, v36                         // 00000000471C: D0480038 00024924
	v_add3_u32 v8, v36, v11, 1                                 // 000000004724: D1FF0008 02061724
	v_cndmask_b32_e64 v4, v8, v10, s[56:57]                    // 00000000472C: D1000004 00E21508
	v_cmp_u_f32_e64 s[56:57], v37, v37                         // 000000004734: D0480038 00024B25
	v_add3_u32 v8, v37, v11, 1                                 // 00000000473C: D1FF0008 02061725
	v_cndmask_b32_e64 v5, v8, v10, s[56:57]                    // 000000004744: D1000005 00E21508
	v_perm_b32 v44, v5, v4, s35                                // 00000000474C: D1ED002C 008E0905
	v_cmp_u_f32_e64 s[56:57], v38, v38                         // 000000004754: D0480038 00024D26
	v_add3_u32 v8, v38, v11, 1                                 // 00000000475C: D1FF0008 02061726
	v_cndmask_b32_e64 v4, v8, v10, s[56:57]                    // 000000004764: D1000004 00E21508
	v_cmp_u_f32_e64 s[56:57], v39, v39                         // 00000000476C: D0480038 00024F27
	v_add3_u32 v8, v39, v11, 1                                 // 000000004774: D1FF0008 02061727
	v_cndmask_b32_e64 v5, v8, v10, s[56:57]                    // 00000000477C: D1000005 00E21508
	v_perm_b32 v45, v5, v4, s35                                // 000000004784: D1ED002D 008E0905
	ds_write_b64 v22, v[40:41]                                 // 00000000478C: D89A0000 00002816
	ds_write_b64 v22, v[42:43] offset:2176                     // 000000004794: D89A0880 00002A16
	ds_write_b64 v22, v[44:45] offset:4352                     // 00000000479C: D89A1100 00002C16
	s_waitcnt lgkmcnt(0)                                       // 0000000047A4: BF8CC07F
	s_barrier                                                  // 0000000047A8: BF8A0000
	ds_read_b32 v40, v25                                       // 0000000047AC: D86C0000 28000019
	ds_read_b32 v41, v25 offset:64                             // 0000000047B4: D86C0040 29000019
	ds_read_b32 v42, v25 offset:2176                           // 0000000047BC: D86C0880 2A000019
	ds_read_b32 v43, v25 offset:2240                           // 0000000047C4: D86C08C0 2B000019
	ds_read_b32 v44, v25 offset:4352                           // 0000000047CC: D86C1100 2C000019
	ds_read_b32 v45, v25 offset:4416                           // 0000000047D4: D86C1140 2D000019
	s_waitcnt lgkmcnt(0)                                       // 0000000047DC: BF8CC07F
	s_mul_i32 s31, s30, 8                                      // 0000000047E0: 921F881E
	v_mov_b32_e32 v4, v15                                      // 0000000047E4: 7E08030F
	s_cmp_lt_i32 s33, s51                                      // 0000000047E8: BF043321
	s_cbranch_scc0 label_089C                                  // 0000000047EC: BF8400E0
	s_mov_b32 s54, -1                                          // 0000000047F0: BEB600C1
	s_mov_b32 s55, 0                                           // 0000000047F4: BEB70080
	s_mov_b64 exec, s[54:55]                                   // 0000000047F8: BEFE0136
	global_atomic_pk_add_bf16 v4, v40, s[16:17]                // 0000000047FC: DD488000 00102804
	s_addk_i32 s33, 0x1                                        // 000000004804: B7210001
	s_cmp_lt_i32 s33, s51                                      // 000000004808: BF043321
	s_cbranch_scc0 label_089C                                  // 00000000480C: BF8400D8
	s_mov_b32 s54, 0                                           // 000000004810: BEB60080
	s_mov_b32 s55, -1                                          // 000000004814: BEB700C1
	s_mov_b64 exec, s[54:55]                                   // 000000004818: BEFE0136
	global_atomic_pk_add_bf16 v4, v40, s[16:17]                // 00000000481C: DD488000 00102804
	s_addk_i32 s33, 0x1                                        // 000000004824: B7210001
	s_mov_b32 s54, -1                                          // 000000004828: BEB600C1
	s_mov_b32 s55, -1                                          // 00000000482C: BEB700C1
	s_mov_b64 exec, s[54:55]                                   // 000000004830: BEFE0136
	v_add_u32_e64 v4, v4, s31                                  // 000000004834: D1340004 00003F04
	s_cmp_lt_i32 s33, s51                                      // 00000000483C: BF043321
	s_cbranch_scc0 label_089C                                  // 000000004840: BF8400CB
	s_mov_b32 s54, -1                                          // 000000004844: BEB600C1
	s_mov_b32 s55, 0                                           // 000000004848: BEB70080
	s_mov_b64 exec, s[54:55]                                   // 00000000484C: BEFE0136
	global_atomic_pk_add_bf16 v4, v41, s[16:17]                // 000000004850: DD488000 00102904
	s_addk_i32 s33, 0x1                                        // 000000004858: B7210001
	s_cmp_lt_i32 s33, s51                                      // 00000000485C: BF043321
	s_cbranch_scc0 label_089C                                  // 000000004860: BF8400C3
	s_mov_b32 s54, 0                                           // 000000004864: BEB60080
	s_mov_b32 s55, -1                                          // 000000004868: BEB700C1
	s_mov_b64 exec, s[54:55]                                   // 00000000486C: BEFE0136
	global_atomic_pk_add_bf16 v4, v41, s[16:17]                // 000000004870: DD488000 00102904
	s_addk_i32 s33, 0x1                                        // 000000004878: B7210001
	s_mov_b32 s54, -1                                          // 00000000487C: BEB600C1
	s_mov_b32 s55, -1                                          // 000000004880: BEB700C1
	s_mov_b64 exec, s[54:55]                                   // 000000004884: BEFE0136
	v_add_u32_e64 v4, v4, s31                                  // 000000004888: D1340004 00003F04
	s_cmp_lt_i32 s33, s51                                      // 000000004890: BF043321
	s_cbranch_scc0 label_089C                                  // 000000004894: BF8400B6
	s_mov_b32 s54, -1                                          // 000000004898: BEB600C1
	s_mov_b32 s55, 0                                           // 00000000489C: BEB70080
	s_mov_b64 exec, s[54:55]                                   // 0000000048A0: BEFE0136
	global_atomic_pk_add_bf16 v4, v42, s[16:17]                // 0000000048A4: DD488000 00102A04
	s_addk_i32 s33, 0x1                                        // 0000000048AC: B7210001
	s_cmp_lt_i32 s33, s51                                      // 0000000048B0: BF043321
	s_cbranch_scc0 label_089C                                  // 0000000048B4: BF8400AE
	s_mov_b32 s54, 0                                           // 0000000048B8: BEB60080
	s_mov_b32 s55, -1                                          // 0000000048BC: BEB700C1
	s_mov_b64 exec, s[54:55]                                   // 0000000048C0: BEFE0136
	global_atomic_pk_add_bf16 v4, v42, s[16:17]                // 0000000048C4: DD488000 00102A04
	s_addk_i32 s33, 0x1                                        // 0000000048CC: B7210001
	s_mov_b32 s54, -1                                          // 0000000048D0: BEB600C1
	s_mov_b32 s55, -1                                          // 0000000048D4: BEB700C1
	s_mov_b64 exec, s[54:55]                                   // 0000000048D8: BEFE0136
	v_add_u32_e64 v4, v4, s31                                  // 0000000048DC: D1340004 00003F04
	s_cmp_lt_i32 s33, s51                                      // 0000000048E4: BF043321
	s_cbranch_scc0 label_089C                                  // 0000000048E8: BF8400A1
	s_mov_b32 s54, -1                                          // 0000000048EC: BEB600C1
	s_mov_b32 s55, 0                                           // 0000000048F0: BEB70080
	s_mov_b64 exec, s[54:55]                                   // 0000000048F4: BEFE0136
	global_atomic_pk_add_bf16 v4, v43, s[16:17]                // 0000000048F8: DD488000 00102B04
	s_addk_i32 s33, 0x1                                        // 000000004900: B7210001
	s_cmp_lt_i32 s33, s51                                      // 000000004904: BF043321
	s_cbranch_scc0 label_089C                                  // 000000004908: BF840099
	s_mov_b32 s54, 0                                           // 00000000490C: BEB60080
	s_mov_b32 s55, -1                                          // 000000004910: BEB700C1
	s_mov_b64 exec, s[54:55]                                   // 000000004914: BEFE0136
	global_atomic_pk_add_bf16 v4, v43, s[16:17]                // 000000004918: DD488000 00102B04
	s_addk_i32 s33, 0x1                                        // 000000004920: B7210001
	s_mov_b32 s54, -1                                          // 000000004924: BEB600C1
	s_mov_b32 s55, -1                                          // 000000004928: BEB700C1
	s_mov_b64 exec, s[54:55]                                   // 00000000492C: BEFE0136
	v_add_u32_e64 v4, v4, s31                                  // 000000004930: D1340004 00003F04
	s_cmp_lt_i32 s33, s51                                      // 000000004938: BF043321
	s_cbranch_scc0 label_089C                                  // 00000000493C: BF84008C
	s_mov_b32 s54, -1                                          // 000000004940: BEB600C1
	s_mov_b32 s55, 0                                           // 000000004944: BEB70080
	s_mov_b64 exec, s[54:55]                                   // 000000004948: BEFE0136
	global_atomic_pk_add_bf16 v4, v44, s[16:17]                // 00000000494C: DD488000 00102C04
	s_addk_i32 s33, 0x1                                        // 000000004954: B7210001
	s_cmp_lt_i32 s33, s51                                      // 000000004958: BF043321
	s_cbranch_scc0 label_089C                                  // 00000000495C: BF840084
	s_mov_b32 s54, 0                                           // 000000004960: BEB60080
	s_mov_b32 s55, -1                                          // 000000004964: BEB700C1
	s_mov_b64 exec, s[54:55]                                   // 000000004968: BEFE0136
	global_atomic_pk_add_bf16 v4, v44, s[16:17]                // 00000000496C: DD488000 00102C04
	s_addk_i32 s33, 0x1                                        // 000000004974: B7210001
	s_mov_b32 s54, -1                                          // 000000004978: BEB600C1
	s_mov_b32 s55, -1                                          // 00000000497C: BEB700C1
	s_mov_b64 exec, s[54:55]                                   // 000000004980: BEFE0136
	v_add_u32_e64 v4, v4, s31                                  // 000000004984: D1340004 00003F04
	s_cmp_lt_i32 s33, s51                                      // 00000000498C: BF043321
	s_cbranch_scc0 label_089C                                  // 000000004990: BF840077
	s_mov_b32 s54, -1                                          // 000000004994: BEB600C1
	s_mov_b32 s55, 0                                           // 000000004998: BEB70080
	s_mov_b64 exec, s[54:55]                                   // 00000000499C: BEFE0136
	global_atomic_pk_add_bf16 v4, v45, s[16:17]                // 0000000049A0: DD488000 00102D04
	s_addk_i32 s33, 0x1                                        // 0000000049A8: B7210001
	s_cmp_lt_i32 s33, s51                                      // 0000000049AC: BF043321
	s_cbranch_scc0 label_089C                                  // 0000000049B0: BF84006F
	s_mov_b32 s54, 0                                           // 0000000049B4: BEB60080
	s_mov_b32 s55, -1                                          // 0000000049B8: BEB700C1
	s_mov_b64 exec, s[54:55]                                   // 0000000049BC: BEFE0136
	global_atomic_pk_add_bf16 v4, v45, s[16:17]                // 0000000049C0: DD488000 00102D04
	s_addk_i32 s33, 0x1                                        // 0000000049C8: B7210001
	s_mov_b32 s54, -1                                          // 0000000049CC: BEB600C1
	s_mov_b32 s55, -1                                          // 0000000049D0: BEB700C1
	s_mov_b64 exec, s[54:55]                                   // 0000000049D4: BEFE0136
	v_add_u32_e64 v4, v4, s31                                  // 0000000049D8: D1340004 00003F04
	s_branch label_089C                                        // 0000000049E0: BF820063

00000000000049e4 <label_0839>:
	s_cmp_lt_u32 s50, 1                                        // 0000000049E4: BF0A8132
	s_cbranch_scc0 label_0842                                  // 0000000049E8: BF840007
	buffer_store_dwordx4 v[28:31], v12, s[16:19], 0 offen      // 0000000049EC: E07C1000 80041C0C
	buffer_store_dwordx4 v[32:35], v13, s[16:19], 0 offen      // 0000000049F4: E07C1000 8004200D
	buffer_store_dwordx4 v[36:39], v14, s[16:19], 0 offen      // 0000000049FC: E07C1000 8004240E
	s_branch label_089C                                        // 000000004A04: BF82005A

0000000000004a08 <label_0842>:
	v_cmp_u_f32_e64 s[56:57], v28, v28                         // 000000004A08: D0480038 0002391C
	v_add3_u32 v8, v28, v11, 1                                 // 000000004A10: D1FF0008 0206171C
	v_cndmask_b32_e64 v4, v8, v10, s[56:57]                    // 000000004A18: D1000004 00E21508
	v_cmp_u_f32_e64 s[56:57], v29, v29                         // 000000004A20: D0480038 00023B1D
	v_add3_u32 v8, v29, v11, 1                                 // 000000004A28: D1FF0008 0206171D
	v_cndmask_b32_e64 v5, v8, v10, s[56:57]                    // 000000004A30: D1000005 00E21508
	v_perm_b32 v40, v5, v4, s35                                // 000000004A38: D1ED0028 008E0905
	v_cmp_u_f32_e64 s[56:57], v30, v30                         // 000000004A40: D0480038 00023D1E
	v_add3_u32 v8, v30, v11, 1                                 // 000000004A48: D1FF0008 0206171E
	v_cndmask_b32_e64 v4, v8, v10, s[56:57]                    // 000000004A50: D1000004 00E21508
	v_cmp_u_f32_e64 s[56:57], v31, v31                         // 000000004A58: D0480038 00023F1F
	v_add3_u32 v8, v31, v11, 1                                 // 000000004A60: D1FF0008 0206171F
	v_cndmask_b32_e64 v5, v8, v10, s[56:57]                    // 000000004A68: D1000005 00E21508
	v_perm_b32 v41, v5, v4, s35                                // 000000004A70: D1ED0029 008E0905
	buffer_store_dwordx2 v[40:41], v12, s[16:19], 0 offen      // 000000004A78: E0741000 8004280C
	v_cmp_u_f32_e64 s[56:57], v32, v32                         // 000000004A80: D0480038 00024120
	v_add3_u32 v8, v32, v11, 1                                 // 000000004A88: D1FF0008 02061720
	v_cndmask_b32_e64 v4, v8, v10, s[56:57]                    // 000000004A90: D1000004 00E21508
	v_cmp_u_f32_e64 s[56:57], v33, v33                         // 000000004A98: D0480038 00024321
	v_add3_u32 v8, v33, v11, 1                                 // 000000004AA0: D1FF0008 02061721
	v_cndmask_b32_e64 v5, v8, v10, s[56:57]                    // 000000004AA8: D1000005 00E21508
	v_perm_b32 v42, v5, v4, s35                                // 000000004AB0: D1ED002A 008E0905
	v_cmp_u_f32_e64 s[56:57], v34, v34                         // 000000004AB8: D0480038 00024522
	v_add3_u32 v8, v34, v11, 1                                 // 000000004AC0: D1FF0008 02061722
	v_cndmask_b32_e64 v4, v8, v10, s[56:57]                    // 000000004AC8: D1000004 00E21508
	v_cmp_u_f32_e64 s[56:57], v35, v35                         // 000000004AD0: D0480038 00024723
	v_add3_u32 v8, v35, v11, 1                                 // 000000004AD8: D1FF0008 02061723
	v_cndmask_b32_e64 v5, v8, v10, s[56:57]                    // 000000004AE0: D1000005 00E21508
	v_perm_b32 v43, v5, v4, s35                                // 000000004AE8: D1ED002B 008E0905
	buffer_store_dwordx2 v[42:43], v13, s[16:19], 0 offen      // 000000004AF0: E0741000 80042A0D
	v_cmp_u_f32_e64 s[56:57], v36, v36                         // 000000004AF8: D0480038 00024924
	v_add3_u32 v8, v36, v11, 1                                 // 000000004B00: D1FF0008 02061724
	v_cndmask_b32_e64 v4, v8, v10, s[56:57]                    // 000000004B08: D1000004 00E21508
	v_cmp_u_f32_e64 s[56:57], v37, v37                         // 000000004B10: D0480038 00024B25
	v_add3_u32 v8, v37, v11, 1                                 // 000000004B18: D1FF0008 02061725
	v_cndmask_b32_e64 v5, v8, v10, s[56:57]                    // 000000004B20: D1000005 00E21508
	v_perm_b32 v44, v5, v4, s35                                // 000000004B28: D1ED002C 008E0905
	v_cmp_u_f32_e64 s[56:57], v38, v38                         // 000000004B30: D0480038 00024D26
	v_add3_u32 v8, v38, v11, 1                                 // 000000004B38: D1FF0008 02061726
	v_cndmask_b32_e64 v4, v8, v10, s[56:57]                    // 000000004B40: D1000004 00E21508
	v_cmp_u_f32_e64 s[56:57], v39, v39                         // 000000004B48: D0480038 00024F27
	v_add3_u32 v8, v39, v11, 1                                 // 000000004B50: D1FF0008 02061727
	v_cndmask_b32_e64 v5, v8, v10, s[56:57]                    // 000000004B58: D1000005 00E21508
	v_perm_b32 v45, v5, v4, s35                                // 000000004B60: D1ED002D 008E0905
	buffer_store_dwordx2 v[44:45], v14, s[16:19], 0 offen      // 000000004B68: E0741000 80042C0E

0000000000004b70 <label_089C>:
	s_waitcnt vmcnt(0) expcnt(0) lgkmcnt(0)                    // 000000004B70: BF8C0000
	s_endpgm                                                   // 000000004B74: BF810000
